;; amdgpu-corpus repo=ROCm/rocFFT kind=compiled arch=gfx1201 opt=O3
	.text
	.amdgcn_target "amdgcn-amd-amdhsa--gfx1201"
	.amdhsa_code_object_version 6
	.protected	bluestein_single_back_len312_dim1_sp_op_CI_CI ; -- Begin function bluestein_single_back_len312_dim1_sp_op_CI_CI
	.globl	bluestein_single_back_len312_dim1_sp_op_CI_CI
	.p2align	8
	.type	bluestein_single_back_len312_dim1_sp_op_CI_CI,@function
bluestein_single_back_len312_dim1_sp_op_CI_CI: ; @bluestein_single_back_len312_dim1_sp_op_CI_CI
; %bb.0:
	s_load_b128 s[4:7], s[0:1], 0x28
	v_mul_u32_u24_e32 v1, 0x9d9, v0
	v_mov_b32_e32 v45, 0
	s_mov_b32 s2, exec_lo
	s_delay_alu instid0(VALU_DEP_2) | instskip(NEXT) | instid1(VALU_DEP_1)
	v_lshrrev_b32_e32 v1, 16, v1
	v_lshl_add_u32 v44, ttmp9, 1, v1
	s_wait_kmcnt 0x0
	s_delay_alu instid0(VALU_DEP_1)
	v_cmpx_gt_u64_e64 s[4:5], v[44:45]
	s_cbranch_execz .LBB0_15
; %bb.1:
	v_mul_lo_u16 v2, v1, 26
	s_clause 0x1
	s_load_b64 s[14:15], s[0:1], 0x0
	s_load_b64 s[12:13], s[0:1], 0x38
	v_and_b32_e32 v1, 1, v1
	v_sub_nc_u16 v0, v0, v2
	s_delay_alu instid0(VALU_DEP_2) | instskip(NEXT) | instid1(VALU_DEP_2)
	v_cmp_eq_u32_e32 vcc_lo, 1, v1
	v_and_b32_e32 v74, 0xffff, v0
	v_cndmask_b32_e64 v75, 0, 0x138, vcc_lo
	v_cmp_gt_u16_e32 vcc_lo, 24, v0
	s_delay_alu instid0(VALU_DEP_3) | instskip(SKIP_1) | instid1(VALU_DEP_4)
	v_lshlrev_b32_e32 v76, 3, v74
	v_or_b32_e32 v73, 0x60, v74
	v_lshlrev_b32_e32 v77, 3, v75
	v_or_b32_e32 v72, 0xc0, v74
	v_or_b32_e32 v71, 0x120, v74
	s_and_saveexec_b32 s3, vcc_lo
	s_cbranch_execz .LBB0_3
; %bb.2:
	s_wait_kmcnt 0x0
	global_load_b64 v[10:11], v76, s[14:15]
	s_load_b64 s[4:5], s[0:1], 0x18
	v_lshl_add_u32 v43, v74, 3, v77
	s_wait_kmcnt 0x0
	s_load_b128 s[8:11], s[4:5], 0x0
	s_wait_kmcnt 0x0
	v_mad_co_u64_u32 v[0:1], null, s10, v44, 0
	v_mad_co_u64_u32 v[2:3], null, s8, v74, 0
	;; [unrolled: 1-line block ×5, first 2 shown]
	s_delay_alu instid0(VALU_DEP_4) | instskip(NEXT) | instid1(VALU_DEP_4)
	v_mad_co_u64_u32 v[12:13], null, s11, v44, v[1:2]
	v_mad_co_u64_u32 v[13:14], null, s9, v74, v[3:4]
	s_delay_alu instid0(VALU_DEP_4) | instskip(NEXT) | instid1(VALU_DEP_4)
	v_mad_co_u64_u32 v[14:15], null, s9, v73, v[5:6]
	v_mad_co_u64_u32 v[15:16], null, s9, v72, v[7:8]
	s_delay_alu instid0(VALU_DEP_4) | instskip(SKIP_1) | instid1(VALU_DEP_1)
	v_mov_b32_e32 v1, v12
	s_mul_u64 s[4:5], s[8:9], 0xc0
	v_lshlrev_b64_e32 v[0:1], 3, v[0:1]
	s_wait_loadcnt 0x0
	v_mad_co_u64_u32 v[16:17], null, s9, v71, v[9:10]
	s_clause 0x1
	global_load_b64 v[17:18], v76, s[14:15] offset:768
	global_load_b64 v[19:20], v76, s[14:15] offset:1536
	v_mov_b32_e32 v5, v14
	v_mov_b32_e32 v7, v15
	;; [unrolled: 1-line block ×3, first 2 shown]
	v_add_co_u32 v16, s2, s6, v0
	s_mul_i32 s6, s9, 0x180
	v_mov_b32_e32 v3, v13
	v_add_co_ci_u32_e64 v23, s2, s7, v1, s2
	v_lshlrev_b64_e32 v[0:1], 3, v[4:5]
	v_lshlrev_b64_e32 v[4:5], 3, v[6:7]
	s_delay_alu instid0(VALU_DEP_4) | instskip(SKIP_1) | instid1(VALU_DEP_2)
	v_lshlrev_b64_e32 v[2:3], 3, v[2:3]
	v_lshlrev_b64_e32 v[8:9], 3, v[8:9]
	v_add_co_u32 v2, s2, v16, v2
	s_wait_alu 0xf1ff
	s_delay_alu instid0(VALU_DEP_3) | instskip(SKIP_1) | instid1(VALU_DEP_2)
	v_add_co_ci_u32_e64 v3, s2, v23, v3, s2
	s_wait_alu 0xfffe
	v_add_co_u32 v6, s2, v2, s4
	s_wait_alu 0xf1ff
	s_delay_alu instid0(VALU_DEP_2)
	v_add_co_ci_u32_e64 v7, s2, s5, v3, s2
	global_load_b64 v[2:3], v[2:3], off
	v_add_co_u32 v12, s2, v6, s4
	s_wait_alu 0xf1ff
	v_add_co_ci_u32_e64 v13, s2, s5, v7, s2
	v_add_co_u32 v0, s2, v16, v0
	s_wait_alu 0xf1ff
	v_add_co_ci_u32_e64 v1, s2, v23, v1, s2
	;; [unrolled: 3-line block ×4, first 2 shown]
	s_delay_alu instid0(VALU_DEP_3)
	v_mad_co_u64_u32 v[21:22], null, 0x180, s8, v[14:15]
	v_add_co_u32 v8, s2, v16, v8
	s_wait_alu 0xf1ff
	v_add_co_ci_u32_e64 v9, s2, v23, v9, s2
	global_load_b64 v[0:1], v[0:1], off
	global_load_b64 v[23:24], v76, s[14:15] offset:2304
	s_clause 0x2
	global_load_b64 v[4:5], v[4:5], off
	global_load_b64 v[8:9], v[8:9], off
	global_load_b64 v[6:7], v[6:7], off
	v_add_nc_u32_e32 v22, s6, v22
	v_add_co_u32 v31, s2, v21, s4
	s_clause 0x2
	global_load_b64 v[25:26], v76, s[14:15] offset:192
	global_load_b64 v[27:28], v76, s[14:15] offset:384
	;; [unrolled: 1-line block ×3, first 2 shown]
	s_clause 0x1
	global_load_b64 v[12:13], v[12:13], off
	global_load_b64 v[14:15], v[14:15], off
	s_wait_alu 0xf1ff
	v_add_co_ci_u32_e64 v32, s2, s5, v22, s2
	v_add_co_u32 v33, s2, v31, s4
	v_add_nc_u32_e32 v59, v77, v76
	s_wait_alu 0xf1ff
	s_delay_alu instid0(VALU_DEP_3)
	v_add_co_ci_u32_e64 v34, s2, s5, v32, s2
	global_load_b64 v[21:22], v[21:22], off
	s_clause 0x3
	global_load_b64 v[37:38], v76, s[14:15] offset:960
	global_load_b64 v[39:40], v76, s[14:15] offset:1152
	;; [unrolled: 1-line block ×4, first 2 shown]
	global_load_b64 v[31:32], v[31:32], off
	v_mad_co_u64_u32 v[35:36], null, 0x180, s8, v[33:34]
	global_load_b64 v[33:34], v[33:34], off
	v_add_nc_u32_e32 v36, s6, v36
	v_add_co_u32 v47, s2, v35, s4
	s_wait_alu 0xf1ff
	s_delay_alu instid0(VALU_DEP_2) | instskip(NEXT) | instid1(VALU_DEP_2)
	v_add_co_ci_u32_e64 v48, s2, s5, v36, s2
	v_add_co_u32 v49, s2, v47, s4
	global_load_b64 v[35:36], v[35:36], off
	s_wait_alu 0xf1ff
	v_add_co_ci_u32_e64 v50, s2, s5, v48, s2
	global_load_b64 v[47:48], v[47:48], off
	s_clause 0x1
	global_load_b64 v[51:52], v76, s[14:15] offset:1920
	global_load_b64 v[53:54], v76, s[14:15] offset:2112
	global_load_b64 v[49:50], v[49:50], off
	s_wait_loadcnt 0x16
	v_mul_f32_e32 v55, v3, v11
	s_wait_loadcnt 0x15
	v_dual_mul_f32 v11, v2, v11 :: v_dual_mul_f32 v16, v1, v18
	v_mul_f32_e32 v58, v0, v18
	s_wait_loadcnt 0x13
	v_mul_f32_e32 v18, v5, v20
	v_mul_f32_e32 v20, v4, v20
	s_wait_loadcnt 0x12
	v_dual_mul_f32 v57, v9, v24 :: v_dual_fmac_f32 v16, v0, v17
	v_dual_mul_f32 v24, v8, v24 :: v_dual_fmac_f32 v55, v2, v10
	v_fmac_f32_e32 v18, v4, v19
	v_fma_f32 v56, v3, v10, -v11
	s_wait_loadcnt 0x10
	v_mul_f32_e32 v2, v7, v26
	s_wait_loadcnt 0xd
	v_dual_mul_f32 v3, v6, v26 :: v_dual_mul_f32 v0, v13, v28
	v_fma_f32 v17, v1, v17, -v58
	s_wait_loadcnt 0xc
	v_dual_mul_f32 v1, v12, v28 :: v_dual_mul_f32 v4, v15, v30
	v_fma_f32 v19, v5, v19, -v20
	v_dual_mul_f32 v5, v14, v30 :: v_dual_fmac_f32 v0, v12, v27
	v_dual_fmac_f32 v57, v8, v23 :: v_dual_fmac_f32 v2, v6, v25
	v_fma_f32 v3, v7, v25, -v3
	v_fma_f32 v1, v13, v27, -v1
	s_wait_loadcnt 0xa
	v_dual_fmac_f32 v4, v14, v29 :: v_dual_mul_f32 v7, v21, v38
	v_fma_f32 v5, v15, v29, -v5
	v_mul_f32_e32 v6, v22, v38
	ds_store_b64 v43, v[55:56]
	ds_store_2addr_b64 v59, v[2:3], v[0:1] offset0:24 offset1:48
	ds_store_2addr_b64 v59, v[4:5], v[16:17] offset0:72 offset1:96
	s_wait_loadcnt 0x6
	v_mul_f32_e32 v1, v31, v40
	s_wait_loadcnt 0x5
	v_dual_mul_f32 v0, v32, v40 :: v_dual_mul_f32 v3, v33, v42
	v_mul_f32_e32 v2, v34, v42
	v_fma_f32 v58, v9, v23, -v24
	v_fmac_f32_e32 v6, v21, v37
	s_delay_alu instid0(VALU_DEP_4)
	v_fmac_f32_e32 v0, v31, v39
	v_fma_f32 v7, v22, v37, -v7
	v_fma_f32 v1, v32, v39, -v1
	s_wait_loadcnt 0x4
	v_mul_f32_e32 v4, v36, v46
	s_wait_loadcnt 0x2
	v_dual_mul_f32 v5, v35, v46 :: v_dual_mul_f32 v8, v48, v52
	s_wait_loadcnt 0x0
	v_mul_f32_e32 v11, v49, v54
	v_dual_mul_f32 v9, v47, v52 :: v_dual_mul_f32 v10, v50, v54
	v_fmac_f32_e32 v2, v33, v41
	v_fma_f32 v3, v34, v41, -v3
	v_fmac_f32_e32 v4, v35, v45
	v_fma_f32 v5, v36, v45, -v5
	;; [unrolled: 2-line block ×4, first 2 shown]
	v_add_nc_u32_e32 v12, 0x800, v59
	ds_store_2addr_b64 v59, v[6:7], v[0:1] offset0:120 offset1:144
	ds_store_2addr_b64 v59, v[2:3], v[18:19] offset0:168 offset1:192
	;; [unrolled: 1-line block ×4, first 2 shown]
.LBB0_3:
	s_or_b32 exec_lo, exec_lo, s3
	s_clause 0x1
	s_load_b64 s[4:5], s[0:1], 0x20
	s_load_b64 s[2:3], s[0:1], 0x8
	v_mov_b32_e32 v0, 0
	v_mov_b32_e32 v1, 0
                                        ; kill: def $vgpr2 killed $sgpr0 killed $exec
	global_wb scope:SCOPE_SE
	s_wait_dscnt 0x0
	s_wait_kmcnt 0x0
	s_barrier_signal -1
	s_barrier_wait -1
	global_inv scope:SCOPE_SE
                                        ; implicit-def: $vgpr14
                                        ; implicit-def: $vgpr6
                                        ; implicit-def: $vgpr24
                                        ; implicit-def: $vgpr10
                                        ; implicit-def: $vgpr18
                                        ; implicit-def: $vgpr22
	s_and_saveexec_b32 s0, vcc_lo
	s_cbranch_execz .LBB0_5
; %bb.4:
	v_lshl_add_u32 v24, v75, 3, v76
	s_delay_alu instid0(VALU_DEP_1)
	v_add_nc_u32_e32 v4, 0x400, v24
	ds_load_2addr_b64 v[0:3], v24 offset1:24
	ds_load_2addr_b64 v[20:23], v24 offset0:48 offset1:72
	ds_load_2addr_b64 v[16:19], v24 offset0:96 offset1:120
	;; [unrolled: 1-line block ×5, first 2 shown]
	ds_load_b64 v[24:25], v24 offset:2304
.LBB0_5:
	s_wait_alu 0xfffe
	s_or_b32 exec_lo, exec_lo, s0
	s_wait_dscnt 0x0
	v_dual_sub_f32 v56, v2, v24 :: v_dual_sub_f32 v55, v20, v6
	v_dual_sub_f32 v52, v3, v25 :: v_dual_add_f32 v31, v25, v3
	s_delay_alu instid0(VALU_DEP_2) | instskip(SKIP_3) | instid1(VALU_DEP_4)
	v_dual_add_f32 v28, v24, v2 :: v_dual_mul_f32 v47, 0xbeedf032, v56
	v_dual_add_f32 v29, v6, v20 :: v_dual_sub_f32 v54, v21, v7
	v_add_f32_e32 v30, v7, v21
	v_dual_sub_f32 v60, v22, v4 :: v_dual_sub_f32 v61, v17, v11
	v_fma_f32 v27, 0x3f62ad3f, v31, -v47
	v_mul_f32_e32 v40, 0xbeedf032, v52
	v_dual_mul_f32 v41, 0xbf52af12, v54 :: v_dual_sub_f32 v58, v23, v5
	v_add_f32_e32 v35, v11, v17
	s_delay_alu instid0(VALU_DEP_3) | instskip(SKIP_1) | instid1(VALU_DEP_4)
	v_dual_add_f32 v27, v27, v1 :: v_dual_fmamk_f32 v26, v28, 0x3f62ad3f, v40
	v_mul_f32_e32 v49, 0xbf52af12, v55
	v_fmamk_f32 v33, v29, 0x3f116cb1, v41
	v_dual_mul_f32 v42, 0xbf7e222b, v58 :: v_dual_sub_f32 v65, v13, v15
	v_sub_f32_e32 v66, v12, v14
	v_add_f32_e32 v26, v26, v0
	v_fma_f32 v34, 0x3f116cb1, v30, -v49
	v_dual_add_f32 v32, v4, v22 :: v_dual_mul_f32 v43, 0xbf6f5d39, v61
	s_delay_alu instid0(VALU_DEP_3) | instskip(SKIP_1) | instid1(VALU_DEP_4)
	v_dual_sub_f32 v63, v19, v9 :: v_dual_add_f32 v26, v33, v26
	v_add_f32_e32 v33, v5, v23
	v_dual_add_f32 v27, v34, v27 :: v_dual_mul_f32 v50, 0xbf7e222b, v60
	s_delay_alu instid0(VALU_DEP_4)
	v_fmamk_f32 v36, v32, 0x3df6dbef, v42
	v_add_f32_e32 v34, v10, v16
	v_sub_f32_e32 v62, v16, v10
	v_dual_mul_f32 v48, 0xbf29c268, v63 :: v_dual_add_f32 v39, v15, v13
	v_fma_f32 v37, 0x3df6dbef, v33, -v50
	v_add_f32_e32 v26, v36, v26
	v_add_f32_e32 v36, v8, v18
	v_sub_f32_e32 v64, v18, v8
	v_mul_lo_u16 v78, v74, 13
	v_add_f32_e32 v27, v37, v27
	v_fmamk_f32 v37, v34, 0xbeb58ec6, v43
	v_fmamk_f32 v45, v36, 0xbf3f9e67, v48
	v_mul_f32_e32 v53, 0xbf6f5d39, v62
	v_mul_f32_e32 v57, 0xbf29c268, v64
	;; [unrolled: 1-line block ×3, first 2 shown]
	global_wb scope:SCOPE_SE
	s_barrier_signal -1
	v_fma_f32 v38, 0xbeb58ec6, v35, -v53
	v_add_f32_e32 v26, v37, v26
	v_add_f32_e32 v37, v9, v19
	s_barrier_wait -1
	global_inv scope:SCOPE_SE
	v_add_f32_e32 v27, v38, v27
	v_add_f32_e32 v38, v14, v12
	v_fma_f32 v46, 0xbf3f9e67, v37, -v57
	s_delay_alu instid0(VALU_DEP_2) | instskip(NEXT) | instid1(VALU_DEP_2)
	v_dual_add_f32 v26, v45, v26 :: v_dual_fmamk_f32 v45, v38, 0xbf788fa5, v51
	v_add_f32_e32 v27, v46, v27
	v_mul_f32_e32 v59, 0xbe750f2a, v66
	s_delay_alu instid0(VALU_DEP_3) | instskip(NEXT) | instid1(VALU_DEP_2)
	v_add_f32_e32 v45, v45, v26
	v_fma_f32 v46, 0xbf788fa5, v39, -v59
	s_delay_alu instid0(VALU_DEP_1)
	v_add_f32_e32 v46, v46, v27
	s_and_saveexec_b32 s0, vcc_lo
	s_cbranch_execz .LBB0_7
; %bb.6:
	v_dual_mul_f32 v82, 0x3f6f5d39, v58 :: v_dual_add_f32 v3, v3, v1
	v_mul_f32_e32 v81, 0xbe750f2a, v54
	v_mul_f32_e32 v97, 0xbf7e222b, v61
	;; [unrolled: 1-line block ×3, first 2 shown]
	s_delay_alu instid0(VALU_DEP_4)
	v_dual_fmamk_f32 v88, v32, 0xbeb58ec6, v82 :: v_dual_mul_f32 v89, 0xbeb58ec6, v31
	v_mul_f32_e32 v84, 0xbf7e222b, v52
	v_mul_f32_e32 v80, 0x3df6dbef, v31
	v_fmamk_f32 v86, v29, 0xbf788fa5, v81
	v_mul_f32_e32 v104, 0x3f7e222b, v54
	v_mul_f32_e32 v107, 0xbf52af12, v58
	v_fmamk_f32 v83, v28, 0x3df6dbef, v84
	v_fmamk_f32 v26, v56, 0x3f7e222b, v80
	v_mul_f32_e32 v79, 0xbf788fa5, v30
	v_mul_f32_e32 v70, 0xbeb58ec6, v33
	;; [unrolled: 1-line block ×4, first 2 shown]
	s_delay_alu instid0(VALU_DEP_4) | instskip(SKIP_1) | instid1(VALU_DEP_3)
	v_dual_add_f32 v26, v26, v1 :: v_dual_fmamk_f32 v27, v55, 0x3e750f2a, v79
	v_dual_mul_f32 v69, 0x3f62ad3f, v35 :: v_dual_mul_f32 v108, 0x3f62ad3f, v37
	v_fmamk_f32 v110, v38, 0x3f116cb1, v102
	v_mul_f32_e32 v116, 0xbf6f5d39, v65
	s_delay_alu instid0(VALU_DEP_4) | instskip(SKIP_4) | instid1(VALU_DEP_4)
	v_add_f32_e32 v26, v27, v26
	v_dual_add_f32 v27, v83, v0 :: v_dual_mul_f32 v68, 0x3f116cb1, v37
	v_mul_f32_e32 v83, 0x3eedf032, v61
	v_fmac_f32_e32 v80, 0xbf7e222b, v56
	v_dual_mul_f32 v111, 0x3eedf032, v63 :: v_dual_mul_f32 v118, 0x3eedf032, v54
	v_add_f32_e32 v27, v86, v27
	v_add_f32_e32 v3, v21, v3
	v_mul_f32_e32 v86, 0xbf52af12, v63
	v_mul_f32_e32 v115, 0xbf29c268, v60
	v_fma_f32 v120, 0x3f62ad3f, v29, -v118
	v_add_f32_e32 v27, v88, v27
	v_fmamk_f32 v88, v56, 0x3f6f5d39, v89
	v_fmac_f32_e32 v89, 0xbf6f5d39, v56
	v_fmamk_f32 v124, v38, 0xbeb58ec6, v116
	v_mul_f32_e32 v113, 0xbe750f2a, v56
	v_fma_f32 v84, 0x3df6dbef, v28, -v84
	v_dual_add_f32 v88, v88, v1 :: v_dual_fmamk_f32 v87, v62, 0xbeedf032, v69
	v_fmamk_f32 v85, v60, 0xbf6f5d39, v70
	v_mul_f32_e32 v67, 0xbf3f9e67, v39
	s_delay_alu instid0(VALU_DEP_4) | instskip(SKIP_1) | instid1(VALU_DEP_3)
	v_dual_mul_f32 v99, 0x3f116cb1, v39 :: v_dual_add_f32 v84, v84, v0
	v_fma_f32 v81, 0xbf788fa5, v29, -v81
	v_dual_add_f32 v26, v85, v26 :: v_dual_fmamk_f32 v93, v66, 0x3f29c268, v67
	v_fmamk_f32 v90, v34, 0x3f62ad3f, v83
	v_dual_mul_f32 v123, 0x3f52af12, v61 :: v_dual_add_f32 v2, v2, v0
	s_delay_alu instid0(VALU_DEP_3) | instskip(SKIP_1) | instid1(VALU_DEP_4)
	v_add_f32_e32 v26, v87, v26
	v_add_f32_e32 v98, v23, v3
	v_dual_add_f32 v27, v90, v27 :: v_dual_fmamk_f32 v90, v36, 0x3f116cb1, v86
	s_delay_alu instid0(VALU_DEP_4) | instskip(NEXT) | instid1(VALU_DEP_3)
	v_dual_add_f32 v2, v20, v2 :: v_dual_fmamk_f32 v23, v34, 0x3df6dbef, v97
	v_dual_fmac_f32 v70, 0x3f6f5d39, v60 :: v_dual_add_f32 v17, v17, v98
	s_delay_alu instid0(VALU_DEP_3) | instskip(NEXT) | instid1(VALU_DEP_3)
	v_dual_add_f32 v90, v90, v27 :: v_dual_fmamk_f32 v85, v64, 0x3f52af12, v68
	v_add_f32_e32 v100, v22, v2
	v_mul_f32_e32 v22, 0x3df6dbef, v30
	v_mul_f32_e32 v95, 0xbf6f5d39, v52
	v_fmac_f32_e32 v68, 0xbf52af12, v64
	v_dual_add_f32 v26, v85, v26 :: v_dual_mul_f32 v85, 0xbf29c268, v65
	v_dual_mul_f32 v87, 0xbf3f9e67, v30 :: v_dual_add_f32 v16, v16, v100
	v_mul_f32_e32 v109, 0x3e750f2a, v61
	s_delay_alu instid0(VALU_DEP_3) | instskip(NEXT) | instid1(VALU_DEP_3)
	v_dual_add_f32 v27, v93, v26 :: v_dual_fmamk_f32 v94, v38, 0xbf3f9e67, v85
	v_fmamk_f32 v91, v55, 0xbf29c268, v87
	v_mul_f32_e32 v93, 0x3df6dbef, v35
	v_fmac_f32_e32 v87, 0x3f29c268, v55
	v_mul_f32_e32 v122, 0xbf6f5d39, v64
	v_add_f32_e32 v26, v94, v90
	v_add_f32_e32 v88, v91, v88
	v_fmamk_f32 v20, v62, 0x3f7e222b, v93
	v_mul_f32_e32 v92, 0x3f62ad3f, v33
	v_dual_mul_f32 v112, 0xbeb58ec6, v39 :: v_dual_fmamk_f32 v125, v37, 0xbeb58ec6, v122
	v_add_f32_e32 v89, v89, v1
	v_fmac_f32_e32 v93, 0xbf7e222b, v62
	s_delay_alu instid0(VALU_DEP_4) | instskip(NEXT) | instid1(VALU_DEP_4)
	v_fmamk_f32 v91, v60, 0xbeedf032, v92
	v_fmamk_f32 v114, v66, 0x3f6f5d39, v112
	v_fmamk_f32 v106, v29, 0x3df6dbef, v104
	v_fmac_f32_e32 v79, 0xbe750f2a, v55
	s_delay_alu instid0(VALU_DEP_4) | instskip(SKIP_3) | instid1(VALU_DEP_4)
	v_dual_fmac_f32 v69, 0x3eedf032, v62 :: v_dual_add_f32 v88, v91, v88
	v_add_f32_e32 v19, v19, v17
	v_mul_f32_e32 v61, 0x3f29c268, v61
	v_fmac_f32_e32 v67, 0xbf29c268, v66
	v_dual_add_f32 v3, v20, v88 :: v_dual_mul_f32 v96, 0xbf788fa5, v37
	v_mul_f32_e32 v88, 0xbf3f9e67, v31
	v_mul_f32_e32 v91, 0x3f29c268, v54
	v_fmac_f32_e32 v92, 0x3eedf032, v60
	v_mul_f32_e32 v54, 0xbf6f5d39, v54
	v_fmamk_f32 v20, v64, 0xbe750f2a, v96
	v_dual_fmamk_f32 v2, v56, 0x3f29c268, v88 :: v_dual_add_f32 v13, v13, v19
	s_delay_alu instid0(VALU_DEP_2) | instskip(SKIP_1) | instid1(VALU_DEP_3)
	v_add_f32_e32 v3, v20, v3
	v_fmamk_f32 v90, v28, 0xbeb58ec6, v95
	v_add_f32_e32 v2, v2, v1
	s_delay_alu instid0(VALU_DEP_4) | instskip(NEXT) | instid1(VALU_DEP_3)
	v_add_f32_e32 v13, v15, v13
	v_dual_add_f32 v21, v90, v0 :: v_dual_fmamk_f32 v90, v29, 0xbf3f9e67, v91
	v_fma_f32 v91, 0xbf3f9e67, v29, -v91
	s_delay_alu instid0(VALU_DEP_3) | instskip(NEXT) | instid1(VALU_DEP_3)
	v_add_f32_e32 v9, v9, v13
	v_dual_add_f32 v21, v90, v21 :: v_dual_mul_f32 v94, 0x3eedf032, v58
	s_delay_alu instid0(VALU_DEP_1) | instskip(NEXT) | instid1(VALU_DEP_1)
	v_dual_add_f32 v9, v11, v9 :: v_dual_fmamk_f32 v90, v32, 0x3f62ad3f, v94
	v_add_f32_e32 v5, v5, v9
	s_delay_alu instid0(VALU_DEP_2) | instskip(NEXT) | instid1(VALU_DEP_2)
	v_dual_add_f32 v21, v90, v21 :: v_dual_mul_f32 v90, 0x3e750f2a, v63
	v_add_f32_e32 v5, v7, v5
	s_delay_alu instid0(VALU_DEP_2) | instskip(SKIP_2) | instid1(VALU_DEP_3)
	v_dual_add_f32 v20, v23, v21 :: v_dual_fmamk_f32 v21, v36, 0xbf788fa5, v90
	v_fma_f32 v95, 0xbeb58ec6, v28, -v95
	v_mul_f32_e32 v126, 0xbf6f5d39, v63
	v_dual_mul_f32 v63, 0x3f7e222b, v63 :: v_dual_add_f32 v20, v21, v20
	v_fmamk_f32 v21, v55, 0xbf7e222b, v22
	v_fmamk_f32 v23, v66, 0xbf52af12, v99
	v_fmac_f32_e32 v22, 0x3f7e222b, v55
	v_fmac_f32_e32 v99, 0x3f52af12, v66
	s_delay_alu instid0(VALU_DEP_4) | instskip(NEXT) | instid1(VALU_DEP_4)
	v_dual_add_f32 v2, v21, v2 :: v_dual_fmamk_f32 v21, v60, 0x3f52af12, v101
	v_add_f32_e32 v3, v23, v3
	s_delay_alu instid0(VALU_DEP_2) | instskip(SKIP_1) | instid1(VALU_DEP_2)
	v_dual_mul_f32 v23, 0xbf29c268, v52 :: v_dual_add_f32 v2, v21, v2
	v_fmamk_f32 v21, v62, 0xbe750f2a, v105
	v_fmamk_f32 v103, v28, 0xbf3f9e67, v23
	v_fmac_f32_e32 v88, 0xbf29c268, v56
	v_mul_f32_e32 v56, 0xbf52af12, v56
	v_add_f32_e32 v80, v80, v1
	v_dual_add_f32 v2, v21, v2 :: v_dual_fmamk_f32 v21, v64, 0xbeedf032, v108
	s_delay_alu instid0(VALU_DEP_4) | instskip(SKIP_2) | instid1(VALU_DEP_4)
	v_dual_add_f32 v103, v103, v0 :: v_dual_add_f32 v88, v88, v1
	v_fmac_f32_e32 v105, 0x3e750f2a, v62
	v_fma_f32 v23, 0xbf3f9e67, v28, -v23
	v_dual_add_f32 v21, v21, v2 :: v_dual_add_f32 v2, v110, v20
	v_fmamk_f32 v20, v31, 0xbf788fa5, v113
	v_add_f32_e32 v22, v22, v88
	v_add_f32_e32 v79, v79, v80
	s_delay_alu instid0(VALU_DEP_4) | instskip(NEXT) | instid1(VALU_DEP_4)
	v_add_f32_e32 v21, v114, v21
	v_dual_add_f32 v103, v106, v103 :: v_dual_add_f32 v20, v20, v1
	v_fmamk_f32 v106, v32, 0x3f116cb1, v107
	v_fmac_f32_e32 v101, 0xbf52af12, v60
	v_add_f32_e32 v80, v81, v84
	v_fma_f32 v81, 0xbeb58ec6, v32, -v82
	v_add_f32_e32 v70, v70, v79
	s_delay_alu instid0(VALU_DEP_4) | instskip(SKIP_4) | instid1(VALU_DEP_4)
	v_dual_add_f32 v103, v106, v103 :: v_dual_add_f32 v22, v101, v22
	v_mul_f32_e32 v110, 0x3eedf032, v55
	v_fmamk_f32 v106, v34, 0xbf788fa5, v109
	v_fma_f32 v104, 0x3df6dbef, v29, -v104
	v_add_f32_e32 v69, v69, v70
	v_dual_add_f32 v105, v105, v22 :: v_dual_fmamk_f32 v114, v30, 0x3f62ad3f, v110
	s_delay_alu instid0(VALU_DEP_4) | instskip(SKIP_2) | instid1(VALU_DEP_4)
	v_dual_add_f32 v103, v106, v103 :: v_dual_fmac_f32 v108, 0x3eedf032, v64
	v_dual_mul_f32 v55, 0xbf6f5d39, v55 :: v_dual_fmac_f32 v112, 0xbf6f5d39, v66
	v_add_f32_e32 v79, v81, v80
	v_add_f32_e32 v20, v114, v20
	v_fmamk_f32 v114, v33, 0xbf3f9e67, v115
	v_mul_f32_e32 v119, 0x3f52af12, v62
	v_fma_f32 v80, 0x3f62ad3f, v34, -v83
	v_add_f32_e32 v83, v68, v69
	v_fma_f32 v84, 0xbf788fa5, v36, -v90
	v_add_f32_e32 v20, v114, v20
	v_fmamk_f32 v114, v35, 0x3f116cb1, v119
	v_dual_mul_f32 v121, 0xbf29c268, v58 :: v_dual_add_f32 v70, v80, v79
	v_fma_f32 v79, 0x3f116cb1, v36, -v86
	v_mul_f32_e32 v58, 0xbe750f2a, v58
	s_delay_alu instid0(VALU_DEP_4) | instskip(SKIP_4) | instid1(VALU_DEP_4)
	v_add_f32_e32 v114, v114, v20
	v_fmamk_f32 v106, v36, 0x3f62ad3f, v111
	v_fma_f32 v80, 0x3f116cb1, v38, -v102
	v_add_f32_e32 v70, v79, v70
	v_fma_f32 v79, 0xbf3f9e67, v38, -v85
	v_dual_fmac_f32 v96, 0x3e750f2a, v64 :: v_dual_add_f32 v103, v106, v103
	v_mul_f32_e32 v62, 0x3f29c268, v62
	s_delay_alu instid0(VALU_DEP_2) | instskip(SKIP_3) | instid1(VALU_DEP_3)
	v_dual_add_f32 v79, v79, v70 :: v_dual_add_f32 v20, v124, v103
	v_dual_add_f32 v103, v125, v114 :: v_dual_mul_f32 v106, 0xbe750f2a, v52
	v_add_f32_e32 v124, v23, v0
	v_mul_f32_e32 v52, 0xbf52af12, v52
	v_fma_f32 v117, 0xbf788fa5, v28, -v106
	s_delay_alu instid0(VALU_DEP_3) | instskip(SKIP_1) | instid1(VALU_DEP_4)
	v_add_f32_e32 v88, v104, v124
	v_fma_f32 v104, 0x3f116cb1, v32, -v107
	v_fma_f32 v70, 0x3f116cb1, v28, -v52
	s_delay_alu instid0(VALU_DEP_4) | instskip(NEXT) | instid1(VALU_DEP_3)
	v_add_f32_e32 v117, v117, v0
	v_add_f32_e32 v88, v104, v88
	v_fma_f32 v104, 0xbf788fa5, v34, -v109
	s_delay_alu instid0(VALU_DEP_4) | instskip(NEXT) | instid1(VALU_DEP_4)
	v_add_f32_e32 v17, v70, v0
	v_add_f32_e32 v117, v120, v117
	v_fma_f32 v120, 0xbf3f9e67, v32, -v121
	v_fma_f32 v70, 0xbeb58ec6, v29, -v54
	v_add_f32_e32 v88, v104, v88
	v_fma_f32 v104, 0x3f62ad3f, v36, -v111
	v_add_f32_e32 v87, v87, v89
	v_add_f32_e32 v117, v120, v117
	v_fma_f32 v120, 0x3f116cb1, v34, -v123
	v_add_f32_e32 v17, v70, v17
	;; [unrolled: 3-line block ×3, first 2 shown]
	v_add_f32_e32 v114, v120, v117
	v_mul_f32_e32 v120, 0x3f7e222b, v66
	v_fma_f32 v70, 0xbf788fa5, v32, -v58
	v_add_f32_e32 v87, v104, v89
	v_add_f32_e32 v89, v95, v0
	v_fma_f32 v117, 0xbeb58ec6, v36, -v126
	s_delay_alu instid0(VALU_DEP_4) | instskip(SKIP_1) | instid1(VALU_DEP_3)
	v_dual_add_f32 v92, v93, v92 :: v_dual_add_f32 v17, v70, v17
	v_fma_f32 v70, 0xbf3f9e67, v34, -v61
	v_dual_add_f32 v89, v91, v89 :: v_dual_add_f32 v114, v117, v114
	v_fmamk_f32 v117, v39, 0x3df6dbef, v120
	v_fma_f32 v91, 0x3f62ad3f, v32, -v94
	v_add_f32_e32 v81, v96, v92
	v_dual_add_f32 v17, v70, v17 :: v_dual_mul_f32 v60, 0xbe750f2a, v60
	s_delay_alu instid0(VALU_DEP_4)
	v_add_f32_e32 v23, v117, v103
	v_mul_f32_e32 v103, 0x3f7e222b, v65
	v_add_f32_e32 v89, v91, v89
	v_fma_f32 v91, 0x3df6dbef, v34, -v97
	v_add_f32_e32 v69, v99, v81
	v_fmamk_f32 v81, v31, 0x3f116cb1, v56
	v_fma_f32 v101, 0x3df6dbef, v38, -v103
	v_mul_f32_e32 v66, 0x3eedf032, v66
	v_add_f32_e32 v82, v91, v89
	v_mul_f32_e32 v70, 0x3df6dbef, v33
	s_delay_alu instid0(VALU_DEP_4) | instskip(SKIP_1) | instid1(VALU_DEP_4)
	v_dual_mul_f32 v65, 0x3eedf032, v65 :: v_dual_add_f32 v22, v101, v114
	v_add_f32_e32 v101, v108, v105
	v_add_f32_e32 v82, v84, v82
	s_delay_alu instid0(VALU_DEP_4) | instskip(SKIP_1) | instid1(VALU_DEP_4)
	v_add_f32_e32 v50, v50, v70
	v_mul_f32_e32 v70, 0xbeb58ec6, v35
	v_dual_fmac_f32 v121, 0xbf3f9e67, v32 :: v_dual_add_f32 v88, v112, v101
	s_delay_alu instid0(VALU_DEP_4)
	v_add_f32_e32 v68, v80, v82
	v_dual_add_f32 v80, v67, v83 :: v_dual_add_f32 v67, v81, v1
	v_mul_f32_e32 v81, 0x3f62ad3f, v28
	v_fma_f32 v83, 0x3f62ad3f, v38, -v65
	v_fmac_f32_e32 v118, 0x3f62ad3f, v29
	v_fmac_f32_e32 v106, 0xbf788fa5, v28
	s_delay_alu instid0(VALU_DEP_4)
	v_dual_fmac_f32 v123, 0x3f116cb1, v34 :: v_dual_sub_f32 v40, v81, v40
	v_mul_f32_e32 v82, 0x3f62ad3f, v31
	v_mul_f32_e32 v81, 0xbf788fa5, v38
	v_fmac_f32_e32 v61, 0xbf3f9e67, v34
	v_fmac_f32_e32 v103, 0x3df6dbef, v38
	v_add_f32_e32 v19, v40, v0
	v_dual_add_f32 v18, v18, v16 :: v_dual_add_f32 v47, v47, v82
	v_fmamk_f32 v16, v30, 0xbeb58ec6, v55
	v_fmac_f32_e32 v65, 0x3f62ad3f, v38
	s_delay_alu instid0(VALU_DEP_3) | instskip(NEXT) | instid1(VALU_DEP_3)
	v_add_f32_e32 v15, v12, v18
	v_dual_add_f32 v47, v47, v1 :: v_dual_add_f32 v16, v16, v67
	v_fmamk_f32 v67, v33, 0xbf788fa5, v60
	s_delay_alu instid0(VALU_DEP_3) | instskip(SKIP_1) | instid1(VALU_DEP_3)
	v_add_f32_e32 v13, v14, v15
	v_fma_f32 v14, 0xbf788fa5, v31, -v113
	v_add_f32_e32 v16, v67, v16
	v_fmamk_f32 v67, v35, 0xbf3f9e67, v62
	s_delay_alu instid0(VALU_DEP_1) | instskip(SKIP_1) | instid1(VALU_DEP_1)
	v_dual_add_f32 v11, v14, v1 :: v_dual_add_f32 v16, v67, v16
	v_mul_f32_e32 v67, 0x3f116cb1, v30
	v_add_f32_e32 v49, v49, v67
	v_fma_f32 v67, 0x3df6dbef, v36, -v63
	s_delay_alu instid0(VALU_DEP_2) | instskip(SKIP_1) | instid1(VALU_DEP_3)
	v_add_f32_e32 v47, v49, v47
	v_mul_f32_e32 v49, 0x3f116cb1, v29
	v_add_f32_e32 v67, v67, v17
	s_delay_alu instid0(VALU_DEP_3) | instskip(SKIP_2) | instid1(VALU_DEP_3)
	v_dual_add_f32 v47, v50, v47 :: v_dual_add_f32 v50, v53, v70
	v_mul_f32_e32 v64, 0x3f7e222b, v64
	v_dual_mul_f32 v53, 0xbf3f9e67, v37 :: v_dual_mul_f32 v70, 0xbf3f9e67, v36
	v_dual_sub_f32 v40, v49, v41 :: v_dual_add_f32 v47, v50, v47
	s_delay_alu instid0(VALU_DEP_2) | instskip(NEXT) | instid1(VALU_DEP_4)
	v_add_f32_e32 v50, v57, v53
	v_fmamk_f32 v82, v37, 0x3df6dbef, v64
	s_delay_alu instid0(VALU_DEP_3) | instskip(SKIP_1) | instid1(VALU_DEP_4)
	v_add_f32_e32 v18, v40, v19
	v_mul_f32_e32 v53, 0xbf788fa5, v39
	v_add_f32_e32 v41, v50, v47
	s_delay_alu instid0(VALU_DEP_4) | instskip(SKIP_1) | instid1(VALU_DEP_4)
	v_add_f32_e32 v16, v82, v16
	v_fmamk_f32 v82, v39, 0x3f62ad3f, v66
	v_add_f32_e32 v47, v59, v53
	s_delay_alu instid0(VALU_DEP_2) | instskip(SKIP_2) | instid1(VALU_DEP_2)
	v_dual_add_f32 v17, v82, v16 :: v_dual_add_f32 v16, v83, v67
	v_mul_f32_e32 v67, 0x3df6dbef, v32
	v_mul_f32_e32 v82, 0xbeb58ec6, v34
	v_sub_f32_e32 v19, v67, v42
	s_delay_alu instid0(VALU_DEP_1) | instskip(NEXT) | instid1(VALU_DEP_1)
	v_dual_add_f32 v15, v19, v18 :: v_dual_sub_f32 v18, v82, v43
	v_add_f32_e32 v14, v18, v15
	v_dual_sub_f32 v15, v70, v48 :: v_dual_add_f32 v8, v8, v13
	v_fma_f32 v13, 0x3f62ad3f, v30, -v110
	s_delay_alu instid0(VALU_DEP_1) | instskip(NEXT) | instid1(VALU_DEP_3)
	v_dual_add_f32 v12, v47, v41 :: v_dual_add_f32 v9, v13, v11
	v_dual_add_f32 v11, v15, v14 :: v_dual_add_f32 v8, v10, v8
	v_sub_f32_e32 v13, v81, v51
	v_fma_f32 v10, 0xbf3f9e67, v33, -v115
	s_delay_alu instid0(VALU_DEP_3) | instskip(SKIP_1) | instid1(VALU_DEP_3)
	v_add_f32_e32 v4, v4, v8
	v_fma_f32 v8, 0x3f116cb1, v35, -v119
	v_add_f32_e32 v7, v10, v9
	v_add_f32_e32 v11, v13, v11
	s_delay_alu instid0(VALU_DEP_4) | instskip(SKIP_1) | instid1(VALU_DEP_4)
	v_dual_add_f32 v5, v25, v5 :: v_dual_add_f32 v4, v6, v4
	v_fma_f32 v9, 0x3f116cb1, v31, -v56
	v_add_f32_e32 v6, v8, v7
	v_fma_f32 v7, 0xbeb58ec6, v37, -v122
	v_add_f32_e32 v8, v106, v0
	s_delay_alu instid0(VALU_DEP_4) | instskip(SKIP_1) | instid1(VALU_DEP_3)
	v_dual_add_f32 v4, v24, v4 :: v_dual_add_f32 v1, v9, v1
	v_fma_f32 v13, 0x3f62ad3f, v39, -v66
	v_dual_add_f32 v6, v7, v6 :: v_dual_add_f32 v7, v118, v8
	v_fma_f32 v8, 0xbeb58ec6, v30, -v55
	v_fmac_f32_e32 v52, 0x3f116cb1, v28
	v_fma_f32 v9, 0x3df6dbef, v39, -v120
	s_delay_alu instid0(VALU_DEP_3) | instskip(SKIP_1) | instid1(VALU_DEP_1)
	v_add_f32_e32 v1, v8, v1
	v_fma_f32 v8, 0xbf788fa5, v33, -v60
	v_dual_fmac_f32 v58, 0xbf788fa5, v32 :: v_dual_add_f32 v1, v8, v1
	v_fma_f32 v8, 0xbf3f9e67, v35, -v62
	s_delay_alu instid0(VALU_DEP_1) | instskip(SKIP_1) | instid1(VALU_DEP_1)
	v_dual_fmac_f32 v126, 0xbeb58ec6, v36 :: v_dual_add_f32 v1, v8, v1
	v_fma_f32 v8, 0x3df6dbef, v37, -v64
	v_dual_add_f32 v8, v8, v1 :: v_dual_add_f32 v7, v121, v7
	v_add_f32_e32 v0, v52, v0
	v_and_b32_e32 v10, 0xffff, v78
	v_add_f32_e32 v1, v9, v6
	s_delay_alu instid0(VALU_DEP_4) | instskip(NEXT) | instid1(VALU_DEP_1)
	v_dual_add_f32 v7, v123, v7 :: v_dual_fmac_f32 v54, 0xbeb58ec6, v29
	v_add_f32_e32 v7, v126, v7
	s_delay_alu instid0(VALU_DEP_2) | instskip(SKIP_1) | instid1(VALU_DEP_2)
	v_add_f32_e32 v0, v54, v0
	v_fmac_f32_e32 v63, 0x3df6dbef, v36
	v_add_f32_e32 v0, v58, v0
	s_delay_alu instid0(VALU_DEP_1) | instskip(NEXT) | instid1(VALU_DEP_1)
	v_add_f32_e32 v0, v61, v0
	v_add_f32_e32 v14, v63, v0
	v_dual_add_f32 v0, v103, v7 :: v_dual_add_f32 v7, v13, v8
	v_add_lshl_u32 v10, v75, v10, 3
	s_delay_alu instid0(VALU_DEP_3)
	v_add_f32_e32 v6, v65, v14
	ds_store_2addr_b64 v10, v[4:5], v[11:12] offset1:1
	ds_store_2addr_b64 v10, v[16:17], v[79:80] offset0:2 offset1:3
	ds_store_2addr_b64 v10, v[68:69], v[87:88] offset0:4 offset1:5
	;; [unrolled: 1-line block ×5, first 2 shown]
	ds_store_b64 v10, v[45:46] offset:96
.LBB0_7:
	s_wait_alu 0xfffe
	s_or_b32 exec_lo, exec_lo, s0
	v_add_nc_u32_e32 v0, -13, v74
	v_cmp_gt_u16_e64 s0, 13, v74
	s_load_b128 s[4:7], s[4:5], 0x0
	global_wb scope:SCOPE_SE
	s_wait_dscnt 0x0
	s_wait_kmcnt 0x0
	s_barrier_signal -1
	s_barrier_wait -1
	v_cndmask_b32_e64 v32, v0, v74, s0
	global_inv scope:SCOPE_SE
	v_add_co_u32 v33, null, v74, 26
	v_add_nc_u16 v2, v74, 52
	v_mul_i32_i24_e32 v0, 24, v32
	v_mul_hi_i32_i24_e32 v1, 24, v32
	v_add_lshl_u32 v79, v75, v74, 3
	s_delay_alu instid0(VALU_DEP_3) | instskip(SKIP_1) | instid1(VALU_DEP_3)
	v_add_co_u32 v0, s0, s2, v0
	s_wait_alu 0xf1ff
	v_add_co_ci_u32_e64 v1, s0, s3, v1, s0
	v_cmp_lt_u16_e64 s0, 12, v74
	s_clause 0x1
	global_load_b128 v[4:7], v[0:1], off
	global_load_b64 v[51:52], v[0:1], off offset:16
	v_and_b32_e32 v3, 0xff, v33
	v_and_b32_e32 v8, 0xff, v2
	s_wait_alu 0xf1ff
	v_cndmask_b32_e64 v36, 0, 52, s0
	s_delay_alu instid0(VALU_DEP_3) | instskip(NEXT) | instid1(VALU_DEP_1)
	v_mul_lo_u16 v3, 0x4f, v3
	v_lshrrev_b16 v20, 10, v3
	v_mul_lo_u16 v3, 0x4f, v8
	s_delay_alu instid0(VALU_DEP_2) | instskip(NEXT) | instid1(VALU_DEP_2)
	v_mul_lo_u16 v0, v20, 13
	v_lshrrev_b16 v21, 10, v3
	v_and_b32_e32 v28, 0xffff, v20
	s_delay_alu instid0(VALU_DEP_3) | instskip(NEXT) | instid1(VALU_DEP_3)
	v_sub_nc_u16 v0, v33, v0
	v_mul_lo_u16 v1, v21, 13
	s_delay_alu instid0(VALU_DEP_2) | instskip(NEXT) | instid1(VALU_DEP_2)
	v_and_b32_e32 v34, 0xff, v0
	v_sub_nc_u16 v2, v2, v1
	s_delay_alu instid0(VALU_DEP_2) | instskip(NEXT) | instid1(VALU_DEP_2)
	v_mad_co_u64_u32 v[0:1], null, v34, 24, s[2:3]
	v_and_b32_e32 v35, 0xff, v2
	s_delay_alu instid0(VALU_DEP_1)
	v_mad_co_u64_u32 v[12:13], null, v35, 24, s[2:3]
	s_clause 0x3
	global_load_b128 v[8:11], v[0:1], off
	global_load_b64 v[49:50], v[0:1], off offset:16
	global_load_b128 v[0:3], v[12:13], off
	global_load_b64 v[47:48], v[12:13], off offset:16
	ds_load_2addr_b64 v[12:15], v79 offset0:52 offset1:78
	ds_load_2addr_b64 v[16:19], v79 offset0:156 offset1:182
	v_and_b32_e32 v29, 0xffff, v21
	ds_load_2addr_b64 v[20:23], v79 offset0:208 offset1:234
	ds_load_2addr_b64 v[24:27], v79 offset1:26
	v_lshlrev_b32_e32 v40, 4, v33
	v_lshlrev_b32_e32 v37, 4, v74
	s_wait_loadcnt_dscnt 0x502
	v_mul_f32_e32 v41, v16, v7
	s_wait_loadcnt_dscnt 0x401
	v_mul_f32_e32 v43, v22, v52
	s_delay_alu instid0(VALU_DEP_2) | instskip(NEXT) | instid1(VALU_DEP_2)
	v_dual_mul_f32 v42, v23, v52 :: v_dual_fmac_f32 v41, v17, v6
	v_fmac_f32_e32 v43, v23, v51
	v_mul_u32_u24_e32 v38, 52, v28
	s_wait_dscnt 0x0
	s_delay_alu instid0(VALU_DEP_3) | instskip(NEXT) | instid1(VALU_DEP_2)
	v_dual_sub_f32 v23, v25, v41 :: v_dual_add_nc_u32 v36, v32, v36
	v_add_nc_u32_e32 v38, v38, v34
	s_delay_alu instid0(VALU_DEP_2) | instskip(SKIP_1) | instid1(VALU_DEP_4)
	v_add_lshl_u32 v84, v75, v36, 3
	v_mul_f32_e32 v36, v15, v5
	v_fma_f32 v25, v25, 2.0, -v23
	s_delay_alu instid0(VALU_DEP_4) | instskip(SKIP_1) | instid1(VALU_DEP_4)
	v_add_lshl_u32 v83, v75, v38, 3
	v_mul_f32_e32 v38, v14, v5
	v_fma_f32 v14, v14, v4, -v36
	s_delay_alu instid0(VALU_DEP_2) | instskip(SKIP_3) | instid1(VALU_DEP_1)
	v_fmac_f32_e32 v38, v15, v4
	v_mul_u32_u24_e32 v39, 52, v29
	ds_load_2addr_b64 v[28:31], v79 offset0:104 offset1:130
	v_add_nc_u32_e32 v39, v39, v35
	v_add_lshl_u32 v82, v75, v39, 3
	v_mul_f32_e32 v39, v17, v7
	s_delay_alu instid0(VALU_DEP_1) | instskip(SKIP_4) | instid1(VALU_DEP_3)
	v_fma_f32 v15, v16, v6, -v39
	v_fma_f32 v16, v22, v51, -v42
	s_wait_loadcnt 0x3
	v_mul_f32_e32 v41, v18, v11
	v_mul_f32_e32 v39, v19, v11
	v_dual_sub_f32 v22, v24, v15 :: v_dual_sub_f32 v15, v14, v16
	v_sub_f32_e32 v16, v38, v43
	v_add_nc_u32_e32 v65, 0x800, v79
	v_fmac_f32_e32 v41, v19, v10
	s_delay_alu instid0(VALU_DEP_4)
	v_fma_f32 v24, v24, 2.0, -v22
	v_fma_f32 v17, v14, 2.0, -v15
	v_sub_f32_e32 v14, v22, v16
	ds_load_2addr_b64 v[32:35], v65 offset0:4 offset1:30
	v_fma_f32 v36, v38, 2.0, -v16
	s_wait_dscnt 0x1
	v_mul_f32_e32 v38, v28, v9
	s_wait_loadcnt 0x1
	v_dual_sub_f32 v16, v24, v17 :: v_dual_mul_f32 v55, v21, v3
	v_dual_mul_f32 v56, v20, v3 :: v_dual_sub_f32 v17, v25, v36
	v_mul_f32_e32 v36, v29, v9
	v_fmac_f32_e32 v38, v29, v8
	v_fma_f32 v18, v18, v10, -v39
	v_add_f32_e32 v15, v23, v15
	v_mul_f32_e32 v53, v31, v1
	v_mul_f32_e32 v54, v30, v1
	v_fma_f32 v28, v28, v8, -v36
	v_fma_f32 v22, v22, 2.0, -v14
	v_fma_f32 v23, v23, 2.0, -v15
	v_fma_f32 v29, v30, v0, -v53
	v_fmac_f32_e32 v54, v31, v0
	v_sub_f32_e32 v31, v27, v41
	v_fma_f32 v24, v24, 2.0, -v16
	s_wait_dscnt 0x0
	v_mul_f32_e32 v42, v33, v50
	v_mul_f32_e32 v43, v32, v50
	s_wait_loadcnt 0x0
	v_mul_f32_e32 v57, v35, v48
	v_mul_f32_e32 v58, v34, v48
	v_fma_f32 v20, v20, v2, -v55
	v_fma_f32 v19, v32, v49, -v42
	v_fmac_f32_e32 v43, v33, v49
	v_fmac_f32_e32 v56, v21, v2
	v_fma_f32 v21, v34, v47, -v57
	s_delay_alu instid0(VALU_DEP_4) | instskip(NEXT) | instid1(VALU_DEP_3)
	v_dual_sub_f32 v30, v26, v18 :: v_dual_sub_f32 v19, v28, v19
	v_dual_fmac_f32 v58, v35, v47 :: v_dual_sub_f32 v33, v13, v56
	v_sub_f32_e32 v32, v12, v20
	s_delay_alu instid0(VALU_DEP_4) | instskip(NEXT) | instid1(VALU_DEP_4)
	v_sub_f32_e32 v20, v29, v21
	v_fma_f32 v34, v26, 2.0, -v30
	v_fma_f32 v26, v28, 2.0, -v19
	v_add_f32_e32 v19, v31, v19
	v_sub_f32_e32 v18, v38, v43
	v_sub_f32_e32 v21, v54, v58
	v_fma_f32 v35, v27, 2.0, -v31
	v_fma_f32 v36, v12, 2.0, -v32
	v_fma_f32 v28, v29, 2.0, -v20
	v_fma_f32 v27, v38, 2.0, -v18
	v_fma_f32 v38, v13, 2.0, -v33
	v_add_f32_e32 v13, v33, v20
	v_fma_f32 v29, v54, 2.0, -v21
	v_sub_f32_e32 v18, v30, v18
	v_sub_f32_e32 v12, v32, v21
	v_dual_sub_f32 v20, v34, v26 :: v_dual_sub_f32 v21, v35, v27
	s_delay_alu instid0(VALU_DEP_4)
	v_dual_sub_f32 v28, v36, v28 :: v_dual_sub_f32 v29, v38, v29
	v_fma_f32 v25, v25, 2.0, -v17
	v_fma_f32 v26, v30, 2.0, -v18
	;; [unrolled: 1-line block ×9, first 2 shown]
	global_wb scope:SCOPE_SE
	s_barrier_signal -1
	s_barrier_wait -1
	global_inv scope:SCOPE_SE
	ds_store_2addr_b64 v84, v[16:17], v[14:15] offset0:26 offset1:39
	ds_store_2addr_b64 v84, v[24:25], v[22:23] offset1:13
	ds_store_2addr_b64 v83, v[20:21], v[18:19] offset0:26 offset1:39
	ds_store_2addr_b64 v83, v[32:33], v[26:27] offset1:13
	ds_store_2addr_b64 v82, v[34:35], v[30:31] offset1:13
	ds_store_2addr_b64 v82, v[28:29], v[12:13] offset0:26 offset1:39
	global_wb scope:SCOPE_SE
	s_wait_dscnt 0x0
	s_barrier_signal -1
	s_barrier_wait -1
	global_inv scope:SCOPE_SE
	s_clause 0x1
	global_load_b128 v[16:19], v37, s[2:3] offset:312
	global_load_b128 v[12:15], v40, s[2:3] offset:312
	ds_load_2addr_b64 v[20:23], v79 offset0:104 offset1:130
	ds_load_2addr_b64 v[24:27], v79 offset0:208 offset1:234
	;; [unrolled: 1-line block ×4, first 2 shown]
	v_lshlrev_b32_e32 v80, 3, v74
	v_add_co_u32 v36, s0, s2, v37
	s_wait_alu 0xf1ff
	v_add_co_ci_u32_e64 v37, null, s3, 0, s0
	s_wait_loadcnt_dscnt 0x103
	v_mul_f32_e32 v53, v21, v17
	s_wait_loadcnt 0x0
	v_mul_f32_e32 v59, v23, v13
	v_sub_co_u32 v57, s0, v36, v80
	s_wait_alu 0xf1ff
	v_subrev_co_ci_u32_e64 v58, s0, 0, v37, s0
	ds_load_2addr_b64 v[36:39], v79 offset1:26
	ds_load_2addr_b64 v[40:43], v79 offset0:52 offset1:78
	s_wait_dscnt 0x4
	v_dual_mul_f32 v54, v20, v17 :: v_dual_mul_f32 v61, v27, v15
	s_wait_dscnt 0x3
	v_dual_mul_f32 v56, v24, v19 :: v_dual_mul_f32 v63, v29, v17
	;; [unrolled: 2-line block ×3, first 2 shown]
	v_dual_mul_f32 v66, v33, v19 :: v_dual_mul_f32 v69, v30, v13
	v_dual_mul_f32 v55, v25, v19 :: v_dual_mul_f32 v60, v22, v13
	v_mul_f32_e32 v67, v32, v19
	v_mul_f32_e32 v62, v26, v15
	v_fma_f32 v20, v20, v16, -v53
	v_mul_f32_e32 v68, v31, v13
	v_dual_fmac_f32 v54, v21, v16 :: v_dual_fmac_f32 v81, v35, v14
	v_dual_fmac_f32 v56, v25, v18 :: v_dual_fmac_f32 v69, v31, v12
	v_mul_f32_e32 v70, v35, v15
	v_fma_f32 v21, v24, v18, -v55
	v_fma_f32 v22, v22, v12, -v59
	v_fmac_f32_e32 v60, v23, v12
	v_fma_f32 v24, v26, v14, -v61
	v_fmac_f32_e32 v67, v33, v18
	v_dual_fmac_f32 v62, v27, v14 :: v_dual_add_f32 v31, v54, v56
	v_fma_f32 v23, v28, v16, -v63
	v_fmac_f32_e32 v64, v29, v16
	v_fma_f32 v26, v32, v18, -v66
	s_wait_dscnt 0x1
	v_add_f32_e32 v27, v36, v20
	v_fma_f32 v25, v30, v12, -v68
	v_sub_f32_e32 v33, v54, v56
	v_fma_f32 v30, v34, v14, -v70
	v_dual_add_f32 v28, v20, v21 :: v_dual_add_f32 v35, v22, v24
	v_dual_add_f32 v29, v37, v54 :: v_dual_add_f32 v54, v39, v60
	v_add_f32_e32 v55, v60, v62
	v_sub_f32_e32 v53, v60, v62
	v_dual_add_f32 v32, v38, v22 :: v_dual_sub_f32 v63, v64, v67
	s_wait_dscnt 0x0
	v_dual_add_f32 v60, v40, v23 :: v_dual_add_f32 v61, v23, v26
	v_dual_add_f32 v66, v41, v64 :: v_dual_add_f32 v87, v43, v69
	v_dual_add_f32 v64, v64, v67 :: v_dual_add_f32 v85, v25, v30
	v_sub_f32_e32 v68, v23, v26
	v_sub_f32_e32 v86, v69, v81
	v_add_f32_e32 v69, v69, v81
	v_add_f32_e32 v70, v42, v25
	v_dual_sub_f32 v34, v20, v21 :: v_dual_sub_f32 v59, v22, v24
	v_dual_sub_f32 v88, v25, v30 :: v_dual_fmac_f32 v39, -0.5, v55
	v_fma_f32 v22, -0.5, v28, v36
	v_fma_f32 v23, -0.5, v31, v37
	v_fma_f32 v38, -0.5, v35, v38
	v_dual_add_f32 v20, v27, v21 :: v_dual_add_f32 v27, v66, v67
	v_dual_add_f32 v21, v29, v56 :: v_dual_add_f32 v26, v60, v26
	v_fmac_f32_e32 v43, -0.5, v69
	v_fma_f32 v28, -0.5, v61, v40
	v_fma_f32 v29, -0.5, v64, v41
	;; [unrolled: 1-line block ×3, first 2 shown]
	v_dual_add_f32 v24, v32, v24 :: v_dual_add_f32 v31, v87, v81
	v_add_f32_e32 v25, v54, v62
	v_dual_add_f32 v30, v70, v30 :: v_dual_fmamk_f32 v35, v59, 0xbf5db3d7, v39
	v_fmamk_f32 v32, v33, 0x3f5db3d7, v22
	v_dual_fmac_f32 v22, 0xbf5db3d7, v33 :: v_dual_fmamk_f32 v33, v34, 0xbf5db3d7, v23
	v_dual_fmac_f32 v23, 0x3f5db3d7, v34 :: v_dual_fmamk_f32 v34, v53, 0x3f5db3d7, v38
	v_fmac_f32_e32 v39, 0x3f5db3d7, v59
	v_dual_fmac_f32 v38, 0xbf5db3d7, v53 :: v_dual_fmamk_f32 v37, v68, 0xbf5db3d7, v29
	v_dual_fmamk_f32 v36, v63, 0x3f5db3d7, v28 :: v_dual_fmac_f32 v29, 0x3f5db3d7, v68
	v_dual_fmac_f32 v28, 0xbf5db3d7, v63 :: v_dual_fmamk_f32 v41, v88, 0xbf5db3d7, v43
	v_dual_fmamk_f32 v40, v86, 0x3f5db3d7, v42 :: v_dual_fmac_f32 v43, 0x3f5db3d7, v88
	global_wb scope:SCOPE_SE
	s_barrier_signal -1
	s_barrier_wait -1
	global_inv scope:SCOPE_SE
	v_fmac_f32_e32 v42, 0xbf5db3d7, v86
	ds_store_2addr_b64 v79, v[20:21], v[24:25] offset1:26
	ds_store_2addr_b64 v79, v[26:27], v[30:31] offset0:156 offset1:182
	ds_store_2addr_b64 v79, v[32:33], v[34:35] offset0:52 offset1:78
	;; [unrolled: 1-line block ×5, first 2 shown]
	global_wb scope:SCOPE_SE
	s_wait_dscnt 0x0
	s_barrier_signal -1
	s_barrier_wait -1
	global_inv scope:SCOPE_SE
	s_clause 0x5
	global_load_b64 v[59:60], v[57:58], off offset:1144
	global_load_b64 v[63:64], v[57:58], off offset:1352
	;; [unrolled: 1-line block ×6, first 2 shown]
	ds_load_2addr_b64 v[20:23], v79 offset0:156 offset1:182
	ds_load_2addr_b64 v[24:27], v79 offset0:208 offset1:234
	;; [unrolled: 1-line block ×3, first 2 shown]
	v_add_nc_u32_e32 v65, v80, v77
	ds_load_2addr_b64 v[66:69], v79 offset1:26
	ds_load_2addr_b64 v[85:88], v79 offset0:52 offset1:78
	ds_load_2addr_b64 v[89:92], v79 offset0:104 offset1:130
	v_lshl_add_u32 v81, v74, 3, v77
	s_wait_loadcnt_dscnt 0x505
	v_mul_f32_e32 v32, v21, v60
	v_mul_f32_e32 v33, v20, v60
	s_wait_loadcnt 0x4
	v_mul_f32_e32 v34, v23, v64
	v_mul_f32_e32 v35, v22, v64
	s_wait_loadcnt_dscnt 0x204
	v_dual_mul_f32 v37, v24, v56 :: v_dual_mul_f32 v40, v26, v62
	v_mul_f32_e32 v38, v27, v62
	s_wait_loadcnt_dscnt 0x103
	v_mul_f32_e32 v39, v29, v54
	v_mul_f32_e32 v41, v28, v54
	s_wait_loadcnt 0x0
	v_mul_f32_e32 v42, v31, v58
	v_dual_mul_f32 v36, v25, v56 :: v_dual_fmac_f32 v35, v23, v63
	v_dual_mul_f32 v70, v30, v58 :: v_dual_fmac_f32 v33, v21, v59
	v_fma_f32 v20, v20, v59, -v32
	v_fma_f32 v21, v22, v63, -v34
	s_delay_alu instid0(VALU_DEP_4)
	v_fma_f32 v24, v24, v55, -v36
	v_dual_fmac_f32 v37, v25, v55 :: v_dual_fmac_f32 v40, v27, v61
	v_fma_f32 v25, v26, v61, -v38
	v_fma_f32 v26, v28, v53, -v39
	s_wait_dscnt 0x2
	v_dual_fmac_f32 v41, v29, v53 :: v_dual_sub_f32 v22, v66, v20
	v_fma_f32 v27, v30, v57, -v42
	v_dual_fmac_f32 v70, v31, v57 :: v_dual_sub_f32 v43, v69, v35
	s_wait_dscnt 0x1
	v_dual_sub_f32 v23, v67, v33 :: v_dual_sub_f32 v38, v85, v24
	v_sub_f32_e32 v42, v68, v21
	s_wait_dscnt 0x0
	v_dual_sub_f32 v39, v86, v37 :: v_dual_sub_f32 v30, v89, v26
	v_dual_sub_f32 v34, v87, v25 :: v_dual_sub_f32 v35, v88, v40
	;; [unrolled: 1-line block ×3, first 2 shown]
	v_sub_f32_e32 v27, v92, v70
	v_fma_f32 v20, v66, 2.0, -v22
	v_fma_f32 v21, v67, 2.0, -v23
	;; [unrolled: 1-line block ×12, first 2 shown]
	ds_store_2addr_b64 v81, v[22:23], v[42:43] offset0:156 offset1:182
	ds_store_2addr_b64 v81, v[38:39], v[34:35] offset0:208 offset1:234
	ds_store_2addr_b64 v81, v[20:21], v[40:41] offset1:26
	ds_store_2addr_b64 v81, v[36:37], v[32:33] offset0:52 offset1:78
	ds_store_b64 v81, v[28:29] offset:832
	ds_store_b64 v65, v[30:31] offset:2080
	;; [unrolled: 1-line block ×4, first 2 shown]
	global_wb scope:SCOPE_SE
	s_wait_dscnt 0x0
	s_barrier_signal -1
	s_barrier_wait -1
	global_inv scope:SCOPE_SE
	s_and_saveexec_b32 s2, vcc_lo
	s_cbranch_execz .LBB0_9
; %bb.8:
	s_add_nc_u64 s[0:1], s[14:15], 0x9c0
	s_clause 0xc
	global_load_b64 v[105:106], v76, s[14:15] offset:2496
	global_load_b64 v[107:108], v76, s[0:1] offset:192
	;; [unrolled: 1-line block ×13, first 2 shown]
	ds_load_2addr_b64 v[66:69], v81 offset1:24
	ds_load_2addr_b64 v[85:88], v81 offset0:48 offset1:72
	ds_load_2addr_b64 v[89:92], v81 offset0:96 offset1:120
	;; [unrolled: 1-line block ×3, first 2 shown]
	s_wait_loadcnt_dscnt 0xc03
	v_dual_mul_f32 v134, v66, v106 :: v_dual_add_nc_u32 v135, 0x400, v81
	ds_load_2addr_b64 v[97:100], v81 offset0:192 offset1:216
	ds_load_b64 v[131:132], v81 offset:2304
	ds_load_2addr_b64 v[101:104], v135 offset0:112 offset1:136
	s_wait_loadcnt 0xb
	v_dual_mul_f32 v133, v67, v106 :: v_dual_mul_f32 v136, v69, v108
	s_wait_loadcnt_dscnt 0xa05
	v_dual_mul_f32 v106, v68, v108 :: v_dual_mul_f32 v137, v86, v110
	v_mul_f32_e32 v70, v85, v110
	s_wait_loadcnt_dscnt 0x804
	v_dual_mul_f32 v138, v88, v112 :: v_dual_mul_f32 v139, v90, v114
	s_wait_loadcnt_dscnt 0x603
	v_dual_mul_f32 v108, v87, v112 :: v_dual_mul_f32 v141, v94, v118
	v_mul_f32_e32 v110, v89, v114
	v_mul_f32_e32 v140, v92, v116
	;; [unrolled: 1-line block ×4, first 2 shown]
	s_wait_loadcnt 0x5
	v_mul_f32_e32 v142, v96, v120
	v_mul_f32_e32 v116, v95, v120
	v_fma_f32 v133, v66, v105, -v133
	s_wait_loadcnt_dscnt 0x402
	v_dual_fmac_f32 v134, v67, v105 :: v_dual_mul_f32 v143, v98, v122
	v_mul_f32_e32 v118, v97, v122
	s_wait_loadcnt_dscnt 0x200
	v_dual_mul_f32 v145, v102, v126 :: v_dual_mul_f32 v144, v100, v124
	v_mul_f32_e32 v120, v99, v124
	v_mul_f32_e32 v122, v101, v126
	s_wait_loadcnt 0x1
	v_mul_f32_e32 v146, v104, v128
	v_mul_f32_e32 v124, v103, v128
	s_wait_loadcnt 0x0
	v_mul_f32_e32 v128, v132, v130
	v_mul_f32_e32 v126, v131, v130
	v_fma_f32 v105, v68, v107, -v136
	v_fmac_f32_e32 v106, v69, v107
	v_fma_f32 v69, v85, v109, -v137
	v_fmac_f32_e32 v70, v86, v109
	;; [unrolled: 2-line block ×12, first 2 shown]
	ds_store_2addr_b64 v81, v[133:134], v[105:106] offset1:24
	ds_store_2addr_b64 v81, v[69:70], v[107:108] offset0:48 offset1:72
	ds_store_2addr_b64 v81, v[109:110], v[111:112] offset0:96 offset1:120
	;; [unrolled: 1-line block ×5, first 2 shown]
	ds_store_b64 v81, v[125:126] offset:2304
.LBB0_9:
	s_wait_alu 0xfffe
	s_or_b32 exec_lo, exec_lo, s2
	global_wb scope:SCOPE_SE
	s_wait_dscnt 0x0
	s_barrier_signal -1
	s_barrier_wait -1
	global_inv scope:SCOPE_SE
	s_and_saveexec_b32 s0, vcc_lo
	s_cbranch_execz .LBB0_11
; %bb.10:
	v_add_nc_u32_e32 v24, 0x400, v81
	ds_load_2addr_b64 v[20:23], v81 offset1:24
	ds_load_2addr_b64 v[40:43], v81 offset0:48 offset1:72
	ds_load_2addr_b64 v[36:39], v81 offset0:96 offset1:120
	;; [unrolled: 1-line block ×5, first 2 shown]
	ds_load_b64 v[45:46], v81 offset:2304
.LBB0_11:
	s_wait_alu 0xfffe
	s_or_b32 exec_lo, exec_lo, s0
	v_add_nc_u32_e32 v86, 0x340, v65
	v_add_nc_u32_e32 v85, 0x410, v65
	global_wb scope:SCOPE_SE
	s_wait_dscnt 0x0
	s_barrier_signal -1
	s_barrier_wait -1
	global_inv scope:SCOPE_SE
	s_and_saveexec_b32 s0, vcc_lo
	s_cbranch_execz .LBB0_13
; %bb.12:
	v_dual_sub_f32 v91, v22, v45 :: v_dual_add_f32 v110, v25, v43
	v_dual_add_f32 v107, v46, v23 :: v_dual_sub_f32 v88, v36, v30
	v_dual_sub_f32 v89, v40, v26 :: v_dual_sub_f32 v90, v38, v28
	s_delay_alu instid0(VALU_DEP_3) | instskip(SKIP_1) | instid1(VALU_DEP_3)
	v_dual_mul_f32 v103, 0xbf7e222b, v91 :: v_dual_add_f32 v94, v26, v40
	v_dual_add_f32 v109, v27, v41 :: v_dual_add_f32 v112, v29, v39
	v_dual_sub_f32 v87, v42, v24 :: v_dual_mul_f32 v104, 0xbe750f2a, v89
	s_delay_alu instid0(VALU_DEP_3) | instskip(SKIP_1) | instid1(VALU_DEP_3)
	v_dual_fmamk_f32 v65, v107, 0x3df6dbef, v103 :: v_dual_sub_f32 v114, v41, v27
	v_add_f32_e32 v111, v31, v37
	v_dual_mul_f32 v105, 0x3f6f5d39, v87 :: v_dual_sub_f32 v92, v32, v34
	s_delay_alu instid0(VALU_DEP_4) | instskip(NEXT) | instid1(VALU_DEP_4)
	v_fmamk_f32 v66, v109, 0xbf788fa5, v104
	v_dual_add_f32 v65, v21, v65 :: v_dual_mul_f32 v106, 0x3eedf032, v88
	s_delay_alu instid0(VALU_DEP_3) | instskip(SKIP_1) | instid1(VALU_DEP_3)
	v_dual_fmamk_f32 v67, v110, 0xbeb58ec6, v105 :: v_dual_sub_f32 v120, v37, v31
	v_add_f32_e32 v93, v45, v22
	v_dual_add_f32 v65, v66, v65 :: v_dual_mul_f32 v108, 0xbf52af12, v90
	v_sub_f32_e32 v113, v23, v46
	v_fmamk_f32 v66, v111, 0x3f62ad3f, v106
	s_delay_alu instid0(VALU_DEP_3) | instskip(NEXT) | instid1(VALU_DEP_4)
	v_dual_mul_f32 v116, 0xbe750f2a, v114 :: v_dual_add_f32 v65, v67, v65
	v_dual_fmamk_f32 v67, v112, 0x3f116cb1, v108 :: v_dual_add_f32 v96, v30, v36
	v_dual_sub_f32 v123, v39, v29 :: v_dual_mul_f32 v130, 0x3f29c268, v114
	s_delay_alu instid0(VALU_DEP_3) | instskip(NEXT) | instid1(VALU_DEP_4)
	v_dual_add_f32 v65, v66, v65 :: v_dual_mul_f32 v122, 0x3eedf032, v120
	v_fma_f32 v66, 0xbf788fa5, v94, -v116
	v_mul_f32_e32 v115, 0xbf7e222b, v113
	s_delay_alu instid0(VALU_DEP_4) | instskip(NEXT) | instid1(VALU_DEP_4)
	v_dual_add_f32 v121, v35, v33 :: v_dual_mul_f32 v124, 0xbf52af12, v123
	v_dual_add_f32 v65, v67, v65 :: v_dual_add_f32 v98, v28, v38
	s_delay_alu instid0(VALU_DEP_3) | instskip(SKIP_3) | instid1(VALU_DEP_4)
	v_fma_f32 v68, 0x3df6dbef, v93, -v115
	v_mul_f32_e32 v119, 0xbf29c268, v92
	v_sub_f32_e32 v117, v43, v25
	v_fma_f32 v69, 0x3f62ad3f, v96, -v122
	v_dual_sub_f32 v125, v33, v35 :: v_dual_add_f32 v68, v20, v68
	v_dual_mul_f32 v101, 0xbf6f5d39, v91 :: v_dual_mul_f32 v128, 0xbf6f5d39, v113
	v_fma_f32 v70, 0xbf3f9e67, v94, -v130
	v_mul_f32_e32 v138, 0xbf52af12, v87
	s_delay_alu instid0(VALU_DEP_4)
	v_add_f32_e32 v66, v66, v68
	v_dual_fmamk_f32 v68, v121, 0xbf3f9e67, v119 :: v_dual_add_f32 v95, v24, v42
	v_mul_f32_e32 v118, 0x3f6f5d39, v117
	v_dual_mul_f32 v102, 0x3f29c268, v89 :: v_dual_add_f32 v97, v34, v32
	v_mul_f32_e32 v132, 0x3eedf032, v117
	v_fmamk_f32 v140, v110, 0x3f116cb1, v138
	s_delay_alu instid0(VALU_DEP_4)
	v_fma_f32 v67, 0xbeb58ec6, v95, -v118
	v_mul_f32_e32 v126, 0xbf29c268, v125
	v_mul_f32_e32 v127, 0x3eedf032, v87
	;; [unrolled: 1-line block ×3, first 2 shown]
	v_dual_mul_f32 v131, 0x3e750f2a, v90 :: v_dual_mul_f32 v146, 0x3e750f2a, v120
	v_dual_add_f32 v67, v67, v66 :: v_dual_add_f32 v66, v68, v65
	v_fma_f32 v68, 0x3f116cb1, v98, -v124
	v_mul_f32_e32 v133, 0x3f52af12, v92
	v_mul_f32_e32 v141, 0x3e750f2a, v88
	s_delay_alu instid0(VALU_DEP_4)
	v_add_f32_e32 v65, v69, v67
	v_mul_f32_e32 v149, 0x3f62ad3f, v109
	v_mul_f32_e32 v99, 0xbf29c268, v91
	;; [unrolled: 1-line block ×4, first 2 shown]
	v_add_f32_e32 v65, v68, v65
	v_fma_f32 v68, 0xbf3f9e67, v97, -v126
	v_fmamk_f32 v151, v89, 0xbeedf032, v149
	v_mul_f32_e32 v154, 0x3f116cb1, v111
	v_mul_f32_e32 v156, 0xbeb58ec6, v112
	s_delay_alu instid0(VALU_DEP_4)
	v_dual_mul_f32 v134, 0xbf7e222b, v120 :: v_dual_add_f32 v65, v68, v65
	v_fma_f32 v68, 0xbeb58ec6, v93, -v128
	v_mul_f32_e32 v155, 0x3eedf032, v114
	v_fma_f32 v103, 0x3df6dbef, v107, -v103
	v_mul_f32_e32 v136, 0x3f7e222b, v89
	v_fma_f32 v100, 0x3df6dbef, v96, -v134
	v_dual_add_f32 v68, v20, v68 :: v_dual_fmamk_f32 v67, v107, 0xbeb58ec6, v101
	v_mul_f32_e32 v137, 0x3f52af12, v125
	v_mul_f32_e32 v142, 0x3f7e222b, v114
	v_dual_mul_f32 v145, 0xbf6f5d39, v92 :: v_dual_mul_f32 v150, 0xbf6f5d39, v125
	s_delay_alu instid0(VALU_DEP_4)
	v_dual_add_f32 v68, v70, v68 :: v_dual_add_f32 v67, v21, v67
	v_fma_f32 v70, 0x3f62ad3f, v95, -v132
	v_fmamk_f32 v69, v109, 0xbf3f9e67, v102
	v_fma_f32 v143, 0x3df6dbef, v94, -v142
	v_fma_f32 v101, 0xbeb58ec6, v107, -v101
	;; [unrolled: 1-line block ×3, first 2 shown]
	s_delay_alu instid0(VALU_DEP_4) | instskip(SKIP_1) | instid1(VALU_DEP_4)
	v_dual_add_f32 v70, v70, v68 :: v_dual_add_f32 v67, v69, v67
	v_fmamk_f32 v69, v110, 0x3f62ad3f, v127
	v_dual_add_f32 v101, v21, v101 :: v_dual_fmac_f32 v132, 0x3f62ad3f, v95
	v_mul_f32_e32 v152, 0xbf3f9e67, v110
	s_delay_alu instid0(VALU_DEP_3) | instskip(SKIP_1) | instid1(VALU_DEP_4)
	v_dual_mul_f32 v144, 0xbf52af12, v117 :: v_dual_add_f32 v67, v69, v67
	v_fmamk_f32 v69, v111, 0x3df6dbef, v129
	v_dual_add_f32 v101, v102, v101 :: v_dual_fmac_f32 v124, 0x3f116cb1, v98
	v_add_f32_e32 v103, v21, v103
	v_fmac_f32_e32 v115, 0x3df6dbef, v93
	s_delay_alu instid0(VALU_DEP_4)
	v_add_f32_e32 v67, v69, v67
	v_fmamk_f32 v69, v112, 0xbf788fa5, v131
	v_fma_f32 v131, 0xbf788fa5, v112, -v131
	v_fma_f32 v105, 0xbeb58ec6, v110, -v105
	v_add_f32_e32 v115, v20, v115
	v_fma_f32 v108, 0x3f116cb1, v112, -v108
	v_add_f32_e32 v67, v69, v67
	v_fmamk_f32 v69, v121, 0x3f116cb1, v133
	v_add_f32_e32 v23, v23, v21
	v_fmac_f32_e32 v126, 0xbf3f9e67, v97
	v_fmac_f32_e32 v128, 0xbeb58ec6, v93
	s_delay_alu instid0(VALU_DEP_4)
	v_dual_mul_f32 v159, 0x3df6dbef, v121 :: v_dual_add_f32 v68, v69, v67
	v_fmamk_f32 v67, v107, 0xbf3f9e67, v99
	v_add_f32_e32 v69, v100, v70
	v_fma_f32 v70, 0xbf788fa5, v98, -v135
	v_fmamk_f32 v100, v109, 0x3df6dbef, v136
	v_fma_f32 v136, 0x3df6dbef, v109, -v136
	v_add_f32_e32 v67, v21, v67
	v_add_f32_e32 v23, v41, v23
	;; [unrolled: 1-line block ×3, first 2 shown]
	v_fma_f32 v70, 0x3f116cb1, v97, -v137
	v_fmac_f32_e32 v116, 0xbf788fa5, v94
	v_add_f32_e32 v100, v100, v67
	v_add_f32_e32 v128, v20, v128
	s_delay_alu instid0(VALU_DEP_4) | instskip(NEXT) | instid1(VALU_DEP_4)
	v_dual_fmac_f32 v130, 0xbf3f9e67, v94 :: v_dual_add_f32 v67, v70, v69
	v_add_f32_e32 v115, v116, v115
	s_delay_alu instid0(VALU_DEP_4)
	v_add_f32_e32 v70, v140, v100
	v_fmamk_f32 v100, v111, 0xbf788fa5, v141
	v_mul_f32_e32 v140, 0x3eedf032, v90
	v_fma_f32 v127, 0x3f62ad3f, v110, -v127
	v_fmac_f32_e32 v122, 0x3f62ad3f, v96
	v_mul_f32_e32 v148, 0x3eedf032, v123
	v_add_f32_e32 v70, v100, v70
	v_dual_fmamk_f32 v100, v112, 0x3f62ad3f, v140 :: v_dual_fmamk_f32 v157, v94, 0x3f62ad3f, v155
	v_add_f32_e32 v101, v127, v101
	v_fma_f32 v127, 0x3df6dbef, v111, -v129
	v_mul_f32_e32 v160, 0x3f52af12, v120
	s_delay_alu instid0(VALU_DEP_4) | instskip(SKIP_1) | instid1(VALU_DEP_4)
	v_add_f32_e32 v70, v100, v70
	v_fmamk_f32 v100, v121, 0xbeb58ec6, v145
	v_dual_fmac_f32 v142, 0x3df6dbef, v94 :: v_dual_add_f32 v127, v127, v101
	v_add_f32_e32 v128, v130, v128
	v_fma_f32 v130, 0xbf788fa5, v109, -v104
	s_delay_alu instid0(VALU_DEP_4) | instskip(SKIP_1) | instid1(VALU_DEP_4)
	v_add_f32_e32 v70, v100, v70
	v_fmamk_f32 v100, v91, 0x3e750f2a, v147
	v_dual_mul_f32 v161, 0xbf6f5d39, v123 :: v_dual_add_f32 v128, v132, v128
	s_delay_alu instid0(VALU_DEP_4) | instskip(NEXT) | instid1(VALU_DEP_3)
	v_add_f32_e32 v103, v130, v103
	v_dual_add_f32 v127, v131, v127 :: v_dual_add_f32 v100, v21, v100
	v_fmac_f32_e32 v135, 0xbf788fa5, v98
	v_fmac_f32_e32 v118, 0xbeb58ec6, v95
	v_mul_f32_e32 v131, 0x3f62ad3f, v121
	s_delay_alu instid0(VALU_DEP_4)
	v_dual_add_f32 v103, v105, v103 :: v_dual_add_f32 v100, v151, v100
	v_fmamk_f32 v151, v87, 0x3f29c268, v152
	v_fma_f32 v105, 0x3f62ad3f, v111, -v106
	v_fmac_f32_e32 v134, 0x3df6dbef, v96
	v_fmac_f32_e32 v152, 0xbf29c268, v87
	v_add_f32_e32 v23, v43, v23
	v_dual_add_f32 v100, v151, v100 :: v_dual_fmamk_f32 v151, v88, 0xbf52af12, v154
	v_fma_f32 v99, 0xbf3f9e67, v107, -v99
	v_dual_add_f32 v105, v105, v103 :: v_dual_mul_f32 v132, 0x3f29c268, v120
	v_mul_f32_e32 v116, 0x3f116cb1, v107
	s_delay_alu instid0(VALU_DEP_4)
	v_dual_add_f32 v100, v151, v100 :: v_dual_fmamk_f32 v151, v90, 0x3f6f5d39, v156
	v_mul_f32_e32 v139, 0xbf29c268, v113
	v_add_f32_e32 v99, v21, v99
	v_add_f32_e32 v105, v108, v105
	v_fma_f32 v108, 0xbf3f9e67, v121, -v119
	v_add_f32_e32 v100, v151, v100
	v_fma_f32 v69, 0xbf3f9e67, v93, -v139
	;; [unrolled: 2-line block ×3, first 2 shown]
	v_fmac_f32_e32 v139, 0xbf3f9e67, v93
	v_fmamk_f32 v151, v92, 0xbf7e222b, v159
	v_add_f32_e32 v69, v20, v69
	s_delay_alu instid0(VALU_DEP_4) | instskip(NEXT) | instid1(VALU_DEP_3)
	v_dual_fmac_f32 v137, 0x3f116cb1, v97 :: v_dual_add_f32 v136, v136, v99
	v_dual_mul_f32 v153, 0xbe750f2a, v113 :: v_dual_add_f32 v100, v151, v100
	s_delay_alu instid0(VALU_DEP_3)
	v_add_f32_e32 v69, v143, v69
	v_fma_f32 v143, 0x3f116cb1, v95, -v144
	v_fmac_f32_e32 v144, 0x3f116cb1, v95
	v_fmamk_f32 v151, v98, 0xbeb58ec6, v161
	v_add_f32_e32 v139, v20, v139
	v_fmac_f32_e32 v147, 0xbe750f2a, v91
	v_add_f32_e32 v69, v143, v69
	v_fma_f32 v143, 0xbf788fa5, v96, -v146
	v_fmac_f32_e32 v146, 0xbf788fa5, v96
	v_fmac_f32_e32 v149, 0x3eedf032, v89
	;; [unrolled: 1-line block ×3, first 2 shown]
	v_mul_f32_e32 v130, 0xbe750f2a, v117
	v_add_f32_e32 v69, v143, v69
	v_fma_f32 v143, 0x3f62ad3f, v98, -v148
	v_fmac_f32_e32 v148, 0x3f62ad3f, v98
	s_delay_alu instid0(VALU_DEP_2) | instskip(SKIP_2) | instid1(VALU_DEP_3)
	v_dual_add_f32 v22, v22, v20 :: v_dual_add_f32 v69, v143, v69
	v_fma_f32 v143, 0xbeb58ec6, v97, -v150
	v_fmac_f32_e32 v150, 0xbeb58ec6, v97
	v_add_f32_e32 v22, v40, v22
	v_mul_f32_e32 v40, 0xbeedf032, v113
	s_delay_alu instid0(VALU_DEP_4) | instskip(SKIP_2) | instid1(VALU_DEP_4)
	v_add_f32_e32 v69, v143, v69
	v_fmamk_f32 v143, v93, 0xbf788fa5, v153
	v_dual_add_f32 v23, v37, v23 :: v_dual_fmac_f32 v154, 0x3f52af12, v88
	v_dual_add_f32 v22, v42, v22 :: v_dual_fmamk_f32 v37, v93, 0x3f62ad3f, v40
	s_delay_alu instid0(VALU_DEP_3) | instskip(SKIP_1) | instid1(VALU_DEP_3)
	v_dual_add_f32 v143, v20, v143 :: v_dual_mul_f32 v158, 0xbf29c268, v117
	v_mul_f32_e32 v42, 0xbf52af12, v114
	v_add_f32_e32 v22, v36, v22
	s_delay_alu instid0(VALU_DEP_3) | instskip(NEXT) | instid1(VALU_DEP_4)
	v_dual_fmac_f32 v156, 0xbf6f5d39, v90 :: v_dual_add_f32 v143, v157, v143
	v_dual_fmamk_f32 v157, v95, 0xbf3f9e67, v158 :: v_dual_add_f32 v36, v20, v37
	s_delay_alu instid0(VALU_DEP_1) | instskip(SKIP_1) | instid1(VALU_DEP_2)
	v_dual_add_f32 v22, v38, v22 :: v_dual_add_f32 v143, v157, v143
	v_fmamk_f32 v157, v96, 0x3f116cb1, v160
	v_add_f32_e32 v22, v32, v22
	s_delay_alu instid0(VALU_DEP_2) | instskip(NEXT) | instid1(VALU_DEP_2)
	v_dual_mul_f32 v32, 0xbf6f5d39, v120 :: v_dual_add_f32 v143, v157, v143
	v_dual_mul_f32 v157, 0x3f7e222b, v125 :: v_dual_add_f32 v22, v34, v22
	s_delay_alu instid0(VALU_DEP_2) | instskip(NEXT) | instid1(VALU_DEP_2)
	v_fmamk_f32 v34, v96, 0xbeb58ec6, v32
	v_dual_add_f32 v138, v151, v143 :: v_dual_fmamk_f32 v143, v97, 0x3df6dbef, v157
	s_delay_alu instid0(VALU_DEP_3) | instskip(SKIP_1) | instid1(VALU_DEP_3)
	v_add_f32_e32 v22, v28, v22
	v_fma_f32 v141, 0xbf788fa5, v111, -v141
	v_dual_add_f32 v99, v143, v138 :: v_dual_add_f32 v138, v142, v139
	v_fma_f32 v139, 0x3f62ad3f, v112, -v140
	s_delay_alu instid0(VALU_DEP_3) | instskip(SKIP_3) | instid1(VALU_DEP_4)
	v_add_f32_e32 v136, v141, v136
	v_add_f32_e32 v22, v30, v22
	v_fma_f32 v30, 0xbeb58ec6, v98, -v161
	v_add_f32_e32 v138, v144, v138
	v_add_f32_e32 v136, v139, v136
	v_fma_f32 v139, 0xbeb58ec6, v121, -v145
	v_add_f32_e32 v24, v24, v22
	s_delay_alu instid0(VALU_DEP_4) | instskip(NEXT) | instid1(VALU_DEP_3)
	v_add_f32_e32 v138, v146, v138
	v_add_f32_e32 v102, v139, v136
	s_delay_alu instid0(VALU_DEP_2) | instskip(NEXT) | instid1(VALU_DEP_1)
	v_dual_add_f32 v24, v26, v24 :: v_dual_add_f32 v129, v148, v138
	v_dual_add_f32 v24, v45, v24 :: v_dual_add_f32 v101, v150, v129
	v_fma_f32 v129, 0x3f116cb1, v121, -v133
	v_mul_f32_e32 v133, 0x3f62ad3f, v107
	s_delay_alu instid0(VALU_DEP_2) | instskip(SKIP_3) | instid1(VALU_DEP_4)
	v_dual_add_f32 v104, v129, v127 :: v_dual_add_f32 v127, v134, v128
	v_mul_f32_e32 v134, 0x3eedf032, v125
	v_mul_f32_e32 v128, 0x3df6dbef, v112
	;; [unrolled: 1-line block ×3, first 2 shown]
	v_add_f32_e32 v106, v135, v127
	v_mul_f32_e32 v127, 0xbf3f9e67, v111
	s_delay_alu instid0(VALU_DEP_2)
	v_dual_add_f32 v103, v137, v106 :: v_dual_add_f32 v106, v118, v115
	v_fmamk_f32 v115, v91, 0x3f52af12, v116
	v_mul_f32_e32 v118, 0xbeb58ec6, v109
	v_mul_f32_e32 v109, 0x3f116cb1, v109
	v_add_f32_e32 v23, v39, v23
	v_dual_add_f32 v119, v122, v106 :: v_dual_add_f32 v106, v108, v105
	v_add_f32_e32 v105, v21, v115
	v_fmamk_f32 v108, v89, 0x3f6f5d39, v118
	v_mul_f32_e32 v115, 0xbf788fa5, v110
	v_fmamk_f32 v135, v89, 0x3f52af12, v109
	v_dual_add_f32 v119, v124, v119 :: v_dual_mul_f32 v110, 0x3df6dbef, v110
	s_delay_alu instid0(VALU_DEP_4) | instskip(NEXT) | instid1(VALU_DEP_4)
	v_add_f32_e32 v108, v108, v105
	v_fmamk_f32 v124, v87, 0x3e750f2a, v115
	v_mul_f32_e32 v122, 0xbf52af12, v113
	v_dual_fmac_f32 v118, 0xbf6f5d39, v89 :: v_dual_add_f32 v23, v33, v23
	s_delay_alu instid0(VALU_DEP_3) | instskip(SKIP_2) | instid1(VALU_DEP_4)
	v_dual_mul_f32 v39, 0xbf7e222b, v117 :: v_dual_add_f32 v108, v124, v108
	v_fmamk_f32 v124, v88, 0xbf29c268, v127
	v_fmac_f32_e32 v116, 0xbf52af12, v91
	v_add_f32_e32 v23, v35, v23
	v_fmac_f32_e32 v127, 0x3f29c268, v88
	s_delay_alu instid0(VALU_DEP_4) | instskip(SKIP_3) | instid1(VALU_DEP_3)
	v_dual_fmac_f32 v109, 0xbf52af12, v89 :: v_dual_add_f32 v108, v124, v108
	v_fmamk_f32 v124, v90, 0xbf7e222b, v128
	v_fmac_f32_e32 v128, 0x3f7e222b, v90
	v_fmamk_f32 v37, v94, 0x3f116cb1, v42
	v_dual_add_f32 v29, v29, v23 :: v_dual_add_f32 v108, v124, v108
	v_fmamk_f32 v124, v92, 0xbeedf032, v131
	s_delay_alu instid0(VALU_DEP_3) | instskip(NEXT) | instid1(VALU_DEP_3)
	v_dual_add_f32 v36, v37, v36 :: v_dual_fmamk_f32 v37, v95, 0x3df6dbef, v39
	v_add_f32_e32 v29, v31, v29
	v_fmac_f32_e32 v131, 0x3eedf032, v92
	s_delay_alu instid0(VALU_DEP_4) | instskip(SKIP_3) | instid1(VALU_DEP_3)
	v_add_f32_e32 v108, v124, v108
	v_fmamk_f32 v124, v91, 0x3eedf032, v133
	v_dual_add_f32 v36, v37, v36 :: v_dual_mul_f32 v37, 0xbf29c268, v123
	v_add_f32_e32 v25, v25, v29
	v_dual_fmac_f32 v133, 0xbeedf032, v91 :: v_dual_add_f32 v124, v21, v124
	s_delay_alu instid0(VALU_DEP_3) | instskip(NEXT) | instid1(VALU_DEP_4)
	v_add_f32_e32 v28, v34, v36
	v_fmamk_f32 v31, v98, 0xbf3f9e67, v37
	v_mul_f32_e32 v34, 0xbe750f2a, v125
	s_delay_alu instid0(VALU_DEP_4)
	v_dual_mul_f32 v111, 0xbeb58ec6, v111 :: v_dual_add_f32 v124, v135, v124
	v_add_f32_e32 v105, v126, v119
	v_fmamk_f32 v119, v93, 0x3f116cb1, v122
	v_mul_f32_e32 v126, 0xbf6f5d39, v114
	v_dual_add_f32 v28, v31, v28 :: v_dual_fmamk_f32 v29, v97, 0xbf788fa5, v34
	v_fmamk_f32 v135, v87, 0x3f7e222b, v110
	s_delay_alu instid0(VALU_DEP_4) | instskip(NEXT) | instid1(VALU_DEP_4)
	v_add_f32_e32 v119, v20, v119
	v_fmamk_f32 v129, v94, 0xbeb58ec6, v126
	v_add_f32_e32 v25, v27, v25
	v_add_f32_e32 v27, v21, v147
	;; [unrolled: 1-line block ×5, first 2 shown]
	v_fmamk_f32 v129, v95, 0xbf788fa5, v130
	v_fma_f32 v28, 0xbf788fa5, v93, -v153
	v_add_f32_e32 v26, v149, v27
	v_add_f32_e32 v29, v21, v116
	v_fma_f32 v34, 0xbf788fa5, v97, -v34
	v_add_f32_e32 v107, v129, v119
	v_fmamk_f32 v119, v96, 0xbf3f9e67, v132
	v_mul_f32_e32 v129, 0x3f7e222b, v123
	v_add_f32_e32 v27, v20, v28
	v_fma_f32 v28, 0x3f62ad3f, v94, -v155
	s_delay_alu instid0(VALU_DEP_4) | instskip(NEXT) | instid1(VALU_DEP_4)
	v_dual_add_f32 v26, v152, v26 :: v_dual_add_f32 v107, v119, v107
	v_fmamk_f32 v119, v98, 0x3df6dbef, v129
	v_add_f32_e32 v29, v118, v29
	s_delay_alu instid0(VALU_DEP_4) | instskip(SKIP_1) | instid1(VALU_DEP_4)
	v_add_f32_e32 v27, v28, v27
	v_fma_f32 v28, 0xbf3f9e67, v95, -v158
	v_dual_add_f32 v26, v154, v26 :: v_dual_add_f32 v107, v119, v107
	v_fmamk_f32 v119, v97, 0x3f62ad3f, v134
	v_fmamk_f32 v43, v90, 0x3f29c268, v112
	s_delay_alu instid0(VALU_DEP_4) | instskip(NEXT) | instid1(VALU_DEP_4)
	v_add_f32_e32 v27, v28, v27
	v_add_f32_e32 v26, v156, v26
	v_fma_f32 v28, 0x3f116cb1, v96, -v160
	v_add_f32_e32 v107, v119, v107
	v_fmamk_f32 v119, v88, 0x3f6f5d39, v111
	v_fmac_f32_e32 v115, 0xbe750f2a, v87
	s_delay_alu instid0(VALU_DEP_4) | instskip(SKIP_1) | instid1(VALU_DEP_4)
	v_dual_add_f32 v21, v21, v133 :: v_dual_add_f32 v28, v28, v27
	v_add_f32_e32 v27, v159, v26
	v_add_f32_e32 v41, v119, v41
	s_delay_alu instid0(VALU_DEP_4)
	v_add_f32_e32 v29, v115, v29
	v_fma_f32 v26, 0x3f116cb1, v93, -v122
	v_add_f32_e32 v28, v30, v28
	v_fma_f32 v30, 0x3df6dbef, v97, -v157
	v_add_f32_e32 v41, v43, v41
	v_mul_f32_e32 v33, 0xbf788fa5, v121
	v_add_f32_e32 v29, v127, v29
	s_delay_alu instid0(VALU_DEP_4) | instskip(SKIP_1) | instid1(VALU_DEP_4)
	v_dual_add_f32 v31, v20, v26 :: v_dual_add_f32 v26, v30, v28
	v_add_f32_e32 v21, v109, v21
	v_fmamk_f32 v35, v92, 0x3e750f2a, v33
	s_delay_alu instid0(VALU_DEP_4)
	v_add_f32_e32 v28, v128, v29
	v_fma_f32 v29, 0x3f62ad3f, v93, -v40
	v_fmac_f32_e32 v110, 0xbf7e222b, v87
	v_fmac_f32_e32 v111, 0xbf6f5d39, v88
	v_add_f32_e32 v23, v35, v41
	v_fma_f32 v35, 0xbeb58ec6, v94, -v126
	v_add_f32_e32 v20, v20, v29
	v_fma_f32 v29, 0x3f116cb1, v94, -v42
	v_dual_add_f32 v21, v110, v21 :: v_dual_fmac_f32 v112, 0xbf29c268, v90
	s_delay_alu instid0(VALU_DEP_4) | instskip(SKIP_1) | instid1(VALU_DEP_4)
	v_add_f32_e32 v30, v35, v31
	v_fma_f32 v31, 0xbf788fa5, v95, -v130
	v_add_f32_e32 v20, v29, v20
	v_fma_f32 v29, 0x3df6dbef, v95, -v39
	v_add_f32_e32 v21, v111, v21
	s_delay_alu instid0(VALU_DEP_4) | instskip(SKIP_1) | instid1(VALU_DEP_4)
	v_dual_fmac_f32 v33, 0xbe750f2a, v92 :: v_dual_add_f32 v30, v31, v30
	v_fma_f32 v31, 0xbf3f9e67, v96, -v132
	v_add_f32_e32 v20, v29, v20
	v_fma_f32 v29, 0xbeb58ec6, v96, -v32
	v_dual_add_f32 v35, v112, v21 :: v_dual_and_b32 v32, 0xffff, v78
	s_delay_alu instid0(VALU_DEP_4) | instskip(SKIP_1) | instid1(VALU_DEP_4)
	v_add_f32_e32 v30, v31, v30
	v_fma_f32 v31, 0x3df6dbef, v98, -v129
	v_add_f32_e32 v20, v29, v20
	v_fma_f32 v29, 0xbf3f9e67, v98, -v37
	v_add_f32_e32 v25, v46, v25
	v_lshl_add_u32 v32, v32, 3, v77
	v_add_f32_e32 v30, v31, v30
	v_fma_f32 v31, 0x3f62ad3f, v97, -v134
	v_add_f32_e32 v36, v29, v20
	v_add_f32_e32 v21, v131, v28
	s_delay_alu instid0(VALU_DEP_3) | instskip(NEXT) | instid1(VALU_DEP_3)
	v_dual_add_f32 v29, v33, v35 :: v_dual_add_f32 v20, v31, v30
	v_add_f32_e32 v28, v34, v36
	ds_store_2addr_b64 v32, v[24:25], v[22:23] offset1:1
	ds_store_2addr_b64 v32, v[107:108], v[105:106] offset0:2 offset1:3
	ds_store_2addr_b64 v32, v[103:104], v[101:102] offset0:4 offset1:5
	;; [unrolled: 1-line block ×5, first 2 shown]
	ds_store_b64 v32, v[28:29] offset:96
.LBB0_13:
	s_wait_alu 0xfffe
	s_or_b32 exec_lo, exec_lo, s0
	global_wb scope:SCOPE_SE
	s_wait_dscnt 0x0
	s_barrier_signal -1
	s_barrier_wait -1
	global_inv scope:SCOPE_SE
	ds_load_2addr_b64 v[20:23], v79 offset0:52 offset1:78
	ds_load_2addr_b64 v[24:27], v79 offset0:156 offset1:182
	;; [unrolled: 1-line block ×4, first 2 shown]
	v_add_nc_u32_e32 v45, 0x800, v79
	s_wait_dscnt 0x2
	v_dual_mul_f32 v46, v5, v23 :: v_dual_mul_f32 v65, v7, v25
	s_wait_dscnt 0x1
	v_dual_mul_f32 v5, v5, v22 :: v_dual_mul_f32 v66, v52, v31
	v_mul_f32_e32 v52, v52, v30
	ds_load_2addr_b64 v[36:39], v45 offset0:4 offset1:30
	ds_load_2addr_b64 v[40:43], v79 offset1:26
	v_dual_mul_f32 v7, v7, v24 :: v_dual_fmac_f32 v46, v4, v22
	s_wait_dscnt 0x2
	v_dual_mul_f32 v67, v9, v33 :: v_dual_mul_f32 v68, v11, v27
	v_dual_mul_f32 v9, v9, v32 :: v_dual_fmac_f32 v66, v51, v30
	v_fma_f32 v4, v4, v23, -v5
	v_dual_fmac_f32 v65, v6, v24 :: v_dual_mul_f32 v22, v3, v29
	v_fma_f32 v5, v6, v25, -v7
	v_mul_f32_e32 v7, v11, v26
	v_dual_fmac_f32 v67, v8, v32 :: v_dual_fmac_f32 v68, v10, v26
	v_fma_f32 v8, v8, v33, -v9
	v_fma_f32 v6, v51, v31, -v52
	v_fmac_f32_e32 v22, v2, v28
	v_fma_f32 v7, v10, v27, -v7
	global_wb scope:SCOPE_SE
	s_wait_dscnt 0x0
	v_dual_mul_f32 v11, v50, v37 :: v_dual_mul_f32 v26, v48, v39
	v_dual_mul_f32 v9, v50, v36 :: v_dual_sub_f32 v10, v40, v65
	v_sub_f32_e32 v27, v41, v5
	s_delay_alu instid0(VALU_DEP_3) | instskip(NEXT) | instid1(VALU_DEP_3)
	v_dual_fmac_f32 v11, v49, v36 :: v_dual_fmac_f32 v26, v47, v38
	v_fma_f32 v9, v49, v37, -v9
	v_sub_f32_e32 v30, v42, v68
	s_barrier_signal -1
	s_barrier_wait -1
	global_inv scope:SCOPE_SE
	v_sub_f32_e32 v33, v8, v9
	v_sub_f32_e32 v5, v4, v6
	v_mul_f32_e32 v3, v3, v28
	v_sub_f32_e32 v32, v43, v7
	s_delay_alu instid0(VALU_DEP_4) | instskip(NEXT) | instid1(VALU_DEP_3)
	v_fma_f32 v7, v8, 2.0, -v33
	v_fma_f32 v25, v2, v29, -v3
	v_fma_f32 v2, v40, 2.0, -v10
	v_mul_f32_e32 v23, v1, v35
	v_mul_f32_e32 v1, v1, v34
	s_delay_alu instid0(VALU_DEP_4) | instskip(NEXT) | instid1(VALU_DEP_3)
	v_dual_sub_f32 v3, v46, v66 :: v_dual_sub_f32 v36, v21, v25
	v_fmac_f32_e32 v23, v0, v34
	s_delay_alu instid0(VALU_DEP_3) | instskip(SKIP_4) | instid1(VALU_DEP_4)
	v_fma_f32 v24, v0, v35, -v1
	v_mul_f32_e32 v1, v48, v38
	v_dual_sub_f32 v35, v20, v22 :: v_dual_add_f32 v22, v30, v33
	v_fma_f32 v4, v4, 2.0, -v5
	v_fma_f32 v0, v46, 2.0, -v3
	v_fma_f32 v29, v47, v39, -v1
	v_sub_f32_e32 v31, v67, v11
	v_fma_f32 v11, v42, 2.0, -v30
	v_fma_f32 v34, v43, 2.0, -v32
	v_sub_f32_e32 v0, v2, v0
	s_delay_alu instid0(VALU_DEP_4) | instskip(NEXT) | instid1(VALU_DEP_3)
	v_fma_f32 v6, v67, 2.0, -v31
	v_sub_f32_e32 v7, v34, v7
	s_delay_alu instid0(VALU_DEP_3) | instskip(NEXT) | instid1(VALU_DEP_3)
	v_fma_f32 v2, v2, 2.0, -v0
	v_sub_f32_e32 v6, v11, v6
	v_fma_f32 v28, v41, 2.0, -v27
	s_delay_alu instid0(VALU_DEP_1) | instskip(SKIP_1) | instid1(VALU_DEP_2)
	v_dual_sub_f32 v1, v28, v4 :: v_dual_add_f32 v4, v10, v5
	v_sub_f32_e32 v5, v27, v3
	v_fma_f32 v8, v10, 2.0, -v4
	s_delay_alu instid0(VALU_DEP_2) | instskip(SKIP_4) | instid1(VALU_DEP_4)
	v_fma_f32 v9, v27, 2.0, -v5
	v_dual_sub_f32 v27, v23, v26 :: v_dual_sub_f32 v26, v24, v29
	v_fma_f32 v29, v21, 2.0, -v36
	v_fma_f32 v10, v11, 2.0, -v6
	;; [unrolled: 1-line block ×5, first 2 shown]
	v_add_f32_e32 v26, v35, v26
	v_fma_f32 v3, v28, 2.0, -v1
	v_fma_f32 v28, v20, 2.0, -v35
	v_sub_f32_e32 v23, v32, v31
	v_sub_f32_e32 v25, v29, v25
	;; [unrolled: 1-line block ×3, first 2 shown]
	v_fma_f32 v20, v30, 2.0, -v22
	v_sub_f32_e32 v24, v28, v21
	v_fma_f32 v21, v32, 2.0, -v23
	v_fma_f32 v29, v29, 2.0, -v25
	;; [unrolled: 1-line block ×5, first 2 shown]
	ds_store_2addr_b64 v84, v[2:3], v[8:9] offset1:13
	ds_store_2addr_b64 v84, v[0:1], v[4:5] offset0:26 offset1:39
	ds_store_2addr_b64 v83, v[10:11], v[20:21] offset1:13
	ds_store_2addr_b64 v83, v[6:7], v[22:23] offset0:26 offset1:39
	;; [unrolled: 2-line block ×3, first 2 shown]
	global_wb scope:SCOPE_SE
	s_wait_dscnt 0x0
	s_barrier_signal -1
	s_barrier_wait -1
	global_inv scope:SCOPE_SE
	ds_load_2addr_b64 v[0:3], v79 offset0:104 offset1:130
	ds_load_2addr_b64 v[4:7], v79 offset0:208 offset1:234
	ds_load_2addr_b64 v[8:11], v79 offset0:156 offset1:182
	ds_load_2addr_b64 v[20:23], v45 offset0:4 offset1:30
	ds_load_2addr_b64 v[24:27], v79 offset1:26
	ds_load_2addr_b64 v[28:31], v79 offset0:52 offset1:78
	global_wb scope:SCOPE_SE
	s_wait_dscnt 0x0
	s_barrier_signal -1
	s_barrier_wait -1
	global_inv scope:SCOPE_SE
	v_mul_f32_e32 v32, v17, v1
	v_dual_mul_f32 v33, v17, v0 :: v_dual_mul_f32 v34, v19, v5
	v_mul_f32_e32 v35, v15, v7
	s_delay_alu instid0(VALU_DEP_3) | instskip(SKIP_1) | instid1(VALU_DEP_4)
	v_dual_mul_f32 v37, v17, v9 :: v_dual_fmac_f32 v32, v16, v0
	v_mul_f32_e32 v0, v19, v4
	v_fma_f32 v1, v16, v1, -v33
	v_dual_mul_f32 v33, v13, v3 :: v_dual_fmac_f32 v34, v18, v4
	v_mul_f32_e32 v4, v13, v2
	s_delay_alu instid0(VALU_DEP_4) | instskip(SKIP_1) | instid1(VALU_DEP_3)
	v_fma_f32 v5, v18, v5, -v0
	v_dual_mul_f32 v0, v15, v6 :: v_dual_fmac_f32 v37, v16, v8
	v_fma_f32 v36, v12, v3, -v4
	s_delay_alu instid0(VALU_DEP_3) | instskip(NEXT) | instid1(VALU_DEP_3)
	v_add_f32_e32 v4, v1, v5
	v_fma_f32 v7, v14, v7, -v0
	v_dual_mul_f32 v0, v19, v20 :: v_dual_fmac_f32 v33, v12, v2
	v_dual_mul_f32 v2, v17, v8 :: v_dual_mul_f32 v17, v19, v21
	v_sub_f32_e32 v8, v32, v34
	s_delay_alu instid0(VALU_DEP_2)
	v_fma_f32 v16, v16, v9, -v2
	v_mul_f32_e32 v2, v13, v10
	v_dual_fmac_f32 v35, v14, v6 :: v_dual_sub_f32 v6, v1, v5
	v_fmac_f32_e32 v17, v18, v20
	v_add_f32_e32 v3, v24, v32
	v_mul_f32_e32 v19, v13, v11
	v_fma_f32 v13, v18, v21, -v0
	v_mul_f32_e32 v0, v15, v22
	v_fma_f32 v20, v12, v11, -v2
	v_add_f32_e32 v2, v32, v34
	v_dual_mul_f32 v18, v15, v23 :: v_dual_add_f32 v9, v26, v33
	s_delay_alu instid0(VALU_DEP_4) | instskip(NEXT) | instid1(VALU_DEP_3)
	v_fma_f32 v21, v14, v23, -v0
	v_fma_f32 v0, -0.5, v2, v24
	v_dual_add_f32 v2, v3, v34 :: v_dual_add_f32 v3, v25, v1
	v_fmac_f32_e32 v19, v12, v10
	v_fma_f32 v1, -0.5, v4, v25
	s_delay_alu instid0(VALU_DEP_4) | instskip(NEXT) | instid1(VALU_DEP_4)
	v_fmamk_f32 v4, v6, 0xbf5db3d7, v0
	v_dual_fmac_f32 v0, 0x3f5db3d7, v6 :: v_dual_add_f32 v3, v3, v5
	v_add_f32_e32 v6, v33, v35
	v_sub_f32_e32 v10, v36, v7
	v_dual_fmamk_f32 v5, v8, 0x3f5db3d7, v1 :: v_dual_fmac_f32 v18, v14, v22
	v_dual_sub_f32 v11, v33, v35 :: v_dual_add_f32 v12, v28, v37
	s_delay_alu instid0(VALU_DEP_4) | instskip(SKIP_3) | instid1(VALU_DEP_3)
	v_fma_f32 v26, -0.5, v6, v26
	v_dual_fmac_f32 v1, 0xbf5db3d7, v8 :: v_dual_add_f32 v8, v36, v7
	v_dual_add_f32 v6, v9, v35 :: v_dual_add_f32 v9, v27, v36
	v_sub_f32_e32 v15, v16, v13
	v_dual_add_f32 v12, v12, v17 :: v_dual_fmac_f32 v27, -0.5, v8
	v_fmamk_f32 v8, v10, 0xbf5db3d7, v26
	v_fmac_f32_e32 v26, 0x3f5db3d7, v10
	v_add_f32_e32 v10, v37, v17
	v_add_f32_e32 v7, v9, v7
	v_fmamk_f32 v9, v11, 0x3f5db3d7, v27
	v_dual_sub_f32 v17, v37, v17 :: v_dual_add_f32 v22, v30, v19
	s_delay_alu instid0(VALU_DEP_4) | instskip(SKIP_3) | instid1(VALU_DEP_2)
	v_fma_f32 v10, -0.5, v10, v28
	v_fmac_f32_e32 v27, 0xbf5db3d7, v11
	v_dual_add_f32 v11, v16, v13 :: v_dual_add_f32 v16, v29, v16
	v_dual_sub_f32 v23, v20, v21 :: v_dual_sub_f32 v24, v19, v18
	v_dual_add_f32 v13, v16, v13 :: v_dual_add_f32 v16, v19, v18
	v_fmamk_f32 v14, v15, 0xbf5db3d7, v10
	v_fmac_f32_e32 v10, 0x3f5db3d7, v15
	v_fma_f32 v11, -0.5, v11, v29
	s_delay_alu instid0(VALU_DEP_4) | instskip(NEXT) | instid1(VALU_DEP_2)
	v_fma_f32 v30, -0.5, v16, v30
	v_dual_add_f32 v16, v22, v18 :: v_dual_fmamk_f32 v15, v17, 0x3f5db3d7, v11
	v_fmac_f32_e32 v11, 0xbf5db3d7, v17
	s_delay_alu instid0(VALU_DEP_3) | instskip(SKIP_1) | instid1(VALU_DEP_2)
	v_dual_add_f32 v17, v20, v21 :: v_dual_fmamk_f32 v18, v23, 0xbf5db3d7, v30
	v_add_f32_e32 v20, v31, v20
	v_dual_fmac_f32 v30, 0x3f5db3d7, v23 :: v_dual_fmac_f32 v31, -0.5, v17
	s_delay_alu instid0(VALU_DEP_2) | instskip(NEXT) | instid1(VALU_DEP_2)
	v_add_f32_e32 v17, v20, v21
	v_fmamk_f32 v19, v24, 0x3f5db3d7, v31
	v_fmac_f32_e32 v31, 0xbf5db3d7, v24
	ds_store_2addr_b64 v79, v[2:3], v[6:7] offset1:26
	ds_store_2addr_b64 v79, v[4:5], v[8:9] offset0:52 offset1:78
	ds_store_2addr_b64 v79, v[0:1], v[26:27] offset0:104 offset1:130
	;; [unrolled: 1-line block ×5, first 2 shown]
	global_wb scope:SCOPE_SE
	s_wait_dscnt 0x0
	s_barrier_signal -1
	s_barrier_wait -1
	global_inv scope:SCOPE_SE
	ds_load_2addr_b64 v[0:3], v79 offset0:156 offset1:182
	ds_load_2addr_b64 v[4:7], v79 offset0:208 offset1:234
	;; [unrolled: 1-line block ×3, first 2 shown]
	ds_load_2addr_b64 v[12:15], v79 offset1:26
	ds_load_2addr_b64 v[16:19], v79 offset0:52 offset1:78
	ds_load_2addr_b64 v[20:23], v79 offset0:104 offset1:130
	s_wait_dscnt 0x5
	v_mul_f32_e32 v24, v60, v1
	v_mul_f32_e32 v25, v60, v0
	;; [unrolled: 1-line block ×3, first 2 shown]
	s_wait_dscnt 0x4
	v_dual_mul_f32 v27, v64, v2 :: v_dual_mul_f32 v28, v62, v7
	v_fmac_f32_e32 v24, v59, v0
	s_wait_dscnt 0x3
	v_dual_mul_f32 v0, v56, v4 :: v_dual_mul_f32 v29, v54, v9
	v_fmac_f32_e32 v26, v63, v2
	v_mul_f32_e32 v2, v62, v6
	v_fma_f32 v1, v59, v1, -v25
	v_dual_mul_f32 v25, v56, v5 :: v_dual_fmac_f32 v28, v61, v6
	v_fma_f32 v30, v55, v5, -v0
	s_delay_alu instid0(VALU_DEP_4) | instskip(SKIP_1) | instid1(VALU_DEP_4)
	v_fma_f32 v31, v61, v7, -v2
	v_mul_f32_e32 v2, v54, v8
	v_fmac_f32_e32 v25, v55, v4
	v_fma_f32 v27, v63, v3, -v27
	v_dual_fmac_f32 v29, v53, v8 :: v_dual_mul_f32 v32, v58, v11
	s_wait_dscnt 0x2
	v_dual_mul_f32 v3, v58, v10 :: v_dual_sub_f32 v0, v12, v24
	v_fma_f32 v24, v53, v9, -v2
	v_dual_sub_f32 v1, v13, v1 :: v_dual_sub_f32 v4, v14, v26
	s_wait_dscnt 0x1
	v_dual_sub_f32 v6, v16, v25 :: v_dual_sub_f32 v7, v17, v30
	v_dual_fmac_f32 v32, v57, v10 :: v_dual_sub_f32 v5, v15, v27
	v_fma_f32 v33, v57, v11, -v3
	v_dual_sub_f32 v10, v18, v28 :: v_dual_sub_f32 v11, v19, v31
	v_fma_f32 v2, v12, 2.0, -v0
	v_fma_f32 v3, v13, 2.0, -v1
	;; [unrolled: 1-line block ×4, first 2 shown]
	s_wait_dscnt 0x0
	v_dual_sub_f32 v16, v20, v29 :: v_dual_sub_f32 v17, v21, v24
	v_fma_f32 v8, v14, 2.0, -v4
	v_fma_f32 v9, v15, 2.0, -v5
	v_dual_sub_f32 v24, v22, v32 :: v_dual_sub_f32 v25, v23, v33
	v_fma_f32 v14, v18, 2.0, -v10
	v_fma_f32 v15, v19, 2.0, -v11
	;; [unrolled: 1-line block ×6, first 2 shown]
	ds_store_2addr_b64 v81, v[2:3], v[8:9] offset1:26
	ds_store_2addr_b64 v81, v[0:1], v[4:5] offset0:156 offset1:182
	ds_store_2addr_b64 v81, v[12:13], v[14:15] offset0:52 offset1:78
	;; [unrolled: 1-line block ×3, first 2 shown]
	ds_store_b64 v81, v[18:19] offset:832
	ds_store_b64 v86, v[16:17] offset:1248
	;; [unrolled: 1-line block ×4, first 2 shown]
	global_wb scope:SCOPE_SE
	s_wait_dscnt 0x0
	s_barrier_signal -1
	s_barrier_wait -1
	global_inv scope:SCOPE_SE
	s_and_b32 exec_lo, exec_lo, vcc_lo
	s_cbranch_execz .LBB0_15
; %bb.14:
	s_clause 0xc
	global_load_b64 v[24:25], v76, s[14:15]
	global_load_b64 v[26:27], v76, s[14:15] offset:192
	global_load_b64 v[28:29], v76, s[14:15] offset:384
	;; [unrolled: 1-line block ×12, first 2 shown]
	v_mad_co_u64_u32 v[20:21], null, s6, v44, 0
	v_mad_co_u64_u32 v[22:23], null, s4, v74, 0
	v_lshl_add_u32 v61, v75, 3, v80
	v_mad_co_u64_u32 v[53:54], null, s4, v73, 0
	v_mad_co_u64_u32 v[55:56], null, s4, v72, 0
	s_delay_alu instid0(VALU_DEP_4)
	v_dual_mov_b32 v0, v21 :: v_dual_mov_b32 v1, v23
	v_mad_co_u64_u32 v[57:58], null, s4, v71, 0
	ds_load_b64 v[51:52], v81
	s_mov_b32 s2, 0x1a41a41a
	v_mad_co_u64_u32 v[12:13], null, s7, v44, v[0:1]
	v_mad_co_u64_u32 v[59:60], null, s5, v74, v[1:2]
	ds_load_2addr_b64 v[0:3], v61 offset0:24 offset1:48
	ds_load_2addr_b64 v[4:7], v61 offset0:72 offset1:96
	;; [unrolled: 1-line block ×3, first 2 shown]
	v_add_nc_u32_e32 v60, 0x800, v61
	v_mov_b32_e32 v44, v54
	v_dual_mov_b32 v54, v56 :: v_dual_mov_b32 v21, v12
	ds_load_2addr_b64 v[12:15], v61 offset0:168 offset1:192
	ds_load_2addr_b64 v[16:19], v61 offset0:216 offset1:240
	v_dual_mov_b32 v23, v59 :: v_dual_mov_b32 v56, v58
	s_mov_b32 s3, 0x3f6a41a4
	v_lshlrev_b64_e32 v[20:21], 3, v[20:21]
	s_mul_u64 s[0:1], s[4:5], 0xc0
	s_delay_alu instid0(VALU_DEP_2) | instskip(SKIP_1) | instid1(VALU_DEP_2)
	v_lshlrev_b64_e32 v[58:59], 3, v[22:23]
	s_mul_i32 s6, s5, 0x180
	v_add_co_u32 v76, vcc_lo, s12, v20
	s_wait_alu 0xfffd
	v_add_co_ci_u32_e32 v77, vcc_lo, s13, v21, vcc_lo
	ds_load_2addr_b64 v[20:23], v60 offset0:8 offset1:32
	v_add_co_u32 v60, vcc_lo, v76, v58
	s_wait_alu 0xfffd
	v_add_co_ci_u32_e32 v61, vcc_lo, v77, v59, vcc_lo
	s_wait_alu 0xfffe
	s_delay_alu instid0(VALU_DEP_2) | instskip(SKIP_1) | instid1(VALU_DEP_2)
	v_add_co_u32 v62, vcc_lo, v60, s0
	s_wait_alu 0xfffd
	v_add_co_ci_u32_e32 v63, vcc_lo, s1, v61, vcc_lo
	s_wait_loadcnt_dscnt 0x904
	v_dual_mul_f32 v64, v3, v29 :: v_dual_mul_f32 v65, v5, v31
	s_wait_loadcnt 0x8
	v_dual_mul_f32 v31, v4, v31 :: v_dual_mul_f32 v66, v7, v33
	s_wait_loadcnt_dscnt 0x603
	v_dual_mul_f32 v67, v9, v35 :: v_dual_mul_f32 v68, v11, v37
	v_mul_f32_e32 v29, v2, v29
	v_mul_f32_e32 v33, v6, v33
	s_wait_loadcnt 0x2
	v_mad_co_u64_u32 v[58:59], null, s5, v73, v[44:45]
	v_mul_f32_e32 v44, v52, v25
	v_mul_f32_e32 v25, v51, v25
	;; [unrolled: 1-line block ×4, first 2 shown]
	s_wait_dscnt 0x2
	v_dual_mul_f32 v35, v8, v35 :: v_dual_mul_f32 v70, v15, v41
	v_mul_f32_e32 v69, v13, v39
	v_dual_mul_f32 v41, v14, v41 :: v_dual_fmac_f32 v44, v51, v24
	v_fma_f32 v24, v24, v52, -v25
	s_wait_loadcnt_dscnt 0x0
	v_dual_mul_f32 v37, v10, v37 :: v_dual_mul_f32 v78, v23, v50
	v_dual_mul_f32 v39, v12, v39 :: v_dual_mul_f32 v50, v22, v50
	v_dual_mul_f32 v73, v17, v43 :: v_dual_fmac_f32 v64, v2, v28
	v_dual_mul_f32 v43, v16, v43 :: v_dual_fmac_f32 v66, v6, v32
	v_mul_f32_e32 v74, v19, v46
	v_dual_mul_f32 v46, v18, v46 :: v_dual_mul_f32 v75, v21, v48
	v_mul_f32_e32 v48, v20, v48
	v_dual_fmac_f32 v59, v0, v26 :: v_dual_fmac_f32 v68, v10, v36
	v_fma_f32 v25, v26, v1, -v27
	v_dual_fmac_f32 v67, v8, v34 :: v_dual_fmac_f32 v78, v22, v49
	v_fma_f32 v26, v28, v3, -v29
	;; [unrolled: 2-line block ×3, first 2 shown]
	v_fma_f32 v28, v32, v7, -v33
	v_fma_f32 v29, v34, v9, -v35
	v_fmac_f32_e32 v69, v12, v38
	v_cvt_f64_f32_e32 v[0:1], v44
	v_cvt_f64_f32_e32 v[2:3], v24
	v_fma_f32 v30, v36, v11, -v37
	v_fma_f32 v31, v38, v13, -v39
	v_fmac_f32_e32 v73, v16, v42
	v_fma_f32 v38, v42, v17, -v43
	v_fmac_f32_e32 v74, v18, v45
	;; [unrolled: 2-line block ×3, first 2 shown]
	v_fma_f32 v46, v47, v21, -v48
	v_cvt_f64_f32_e32 v[4:5], v59
	v_cvt_f64_f32_e32 v[6:7], v25
	;; [unrolled: 1-line block ×4, first 2 shown]
	v_mad_co_u64_u32 v[66:67], null, s5, v72, v[54:55]
	v_cvt_f64_f32_e32 v[8:9], v64
	v_cvt_f64_f32_e32 v[10:11], v26
	v_fma_f32 v34, v40, v15, -v41
	v_fma_f32 v50, v49, v23, -v50
	v_cvt_f64_f32_e32 v[12:13], v65
	v_cvt_f64_f32_e32 v[14:15], v27
	;; [unrolled: 1-line block ×5, first 2 shown]
	v_mov_b32_e32 v54, v58
	v_cvt_f64_f32_e32 v[28:29], v69
	v_mad_co_u64_u32 v[69:70], null, s5, v71, v[56:57]
	v_cvt_f64_f32_e32 v[24:25], v68
	v_cvt_f64_f32_e32 v[26:27], v30
	;; [unrolled: 1-line block ×5, first 2 shown]
	v_mov_b32_e32 v56, v66
	v_mov_b32_e32 v58, v69
	v_cvt_f64_f32_e32 v[36:37], v73
	v_cvt_f64_f32_e32 v[40:41], v74
	;; [unrolled: 1-line block ×7, first 2 shown]
	v_mul_f64_e32 v[0:1], s[2:3], v[0:1]
	v_mul_f64_e32 v[2:3], s[2:3], v[2:3]
	v_add_co_u32 v64, vcc_lo, v62, s0
	s_wait_alu 0xfffd
	v_add_co_ci_u32_e32 v65, vcc_lo, s1, v63, vcc_lo
	v_mul_f64_e32 v[4:5], s[2:3], v[4:5]
	v_mul_f64_e32 v[6:7], s[2:3], v[6:7]
	;; [unrolled: 1-line block ×4, first 2 shown]
	v_add_co_u32 v67, vcc_lo, v64, s0
	v_mul_f64_e32 v[8:9], s[2:3], v[8:9]
	v_mul_f64_e32 v[10:11], s[2:3], v[10:11]
	s_wait_alu 0xfffd
	v_add_co_ci_u32_e32 v68, vcc_lo, s1, v65, vcc_lo
	v_mul_f64_e32 v[12:13], s[2:3], v[12:13]
	v_mul_f64_e32 v[14:15], s[2:3], v[14:15]
	;; [unrolled: 1-line block ×6, first 2 shown]
	v_mad_co_u64_u32 v[70:71], null, 0x180, s4, v[67:68]
	v_mul_f64_e32 v[24:25], s[2:3], v[24:25]
	v_mul_f64_e32 v[26:27], s[2:3], v[26:27]
	;; [unrolled: 1-line block ×5, first 2 shown]
	v_lshlrev_b64_e32 v[52:53], 3, v[53:54]
	v_add_nc_u32_e32 v71, s6, v71
	v_mul_f64_e32 v[36:37], s[2:3], v[36:37]
	v_mul_f64_e32 v[40:41], s[2:3], v[40:41]
	;; [unrolled: 1-line block ×7, first 2 shown]
	v_cvt_f32_f64_e32 v0, v[0:1]
	v_cvt_f32_f64_e32 v1, v[2:3]
	v_add_co_u32 v72, vcc_lo, v70, s0
	s_wait_alu 0xfffd
	v_add_co_ci_u32_e32 v73, vcc_lo, s1, v71, vcc_lo
	v_cvt_f32_f64_e32 v2, v[4:5]
	v_cvt_f32_f64_e32 v3, v[6:7]
	v_add_co_u32 v74, vcc_lo, v72, s0
	s_wait_alu 0xfffd
	v_add_co_ci_u32_e32 v75, vcc_lo, s1, v73, vcc_lo
	v_cvt_f32_f64_e32 v4, v[8:9]
	v_cvt_f32_f64_e32 v5, v[10:11]
	;; [unrolled: 1-line block ×10, first 2 shown]
	v_lshlrev_b64_e32 v[28:29], 3, v[55:56]
	v_add_co_u32 v32, vcc_lo, v76, v52
	v_cvt_f32_f64_e32 v12, v[24:25]
	v_cvt_f32_f64_e32 v13, v[26:27]
	;; [unrolled: 1-line block ×5, first 2 shown]
	v_mad_co_u64_u32 v[26:27], null, 0x180, s4, v[74:75]
	v_cvt_f32_f64_e32 v18, v[36:37]
	v_cvt_f32_f64_e32 v20, v[40:41]
	;; [unrolled: 1-line block ×7, first 2 shown]
	s_wait_alu 0xfffd
	v_add_co_ci_u32_e32 v33, vcc_lo, v77, v53, vcc_lo
	v_lshlrev_b64_e32 v[30:31], 3, v[57:58]
	v_add_nc_u32_e32 v27, s6, v27
	v_add_co_u32 v28, vcc_lo, v76, v28
	s_wait_alu 0xfffd
	v_add_co_ci_u32_e32 v29, vcc_lo, v77, v29, vcc_lo
	v_add_co_u32 v34, vcc_lo, v26, s0
	s_wait_alu 0xfffd
	v_add_co_ci_u32_e32 v35, vcc_lo, s1, v27, vcc_lo
	;; [unrolled: 3-line block ×4, first 2 shown]
	s_clause 0x5
	global_store_b64 v[60:61], v[0:1], off
	global_store_b64 v[62:63], v[2:3], off
	;; [unrolled: 1-line block ×13, first 2 shown]
.LBB0_15:
	s_nop 0
	s_sendmsg sendmsg(MSG_DEALLOC_VGPRS)
	s_endpgm
	.section	.rodata,"a",@progbits
	.p2align	6, 0x0
	.amdhsa_kernel bluestein_single_back_len312_dim1_sp_op_CI_CI
		.amdhsa_group_segment_fixed_size 4992
		.amdhsa_private_segment_fixed_size 0
		.amdhsa_kernarg_size 104
		.amdhsa_user_sgpr_count 2
		.amdhsa_user_sgpr_dispatch_ptr 0
		.amdhsa_user_sgpr_queue_ptr 0
		.amdhsa_user_sgpr_kernarg_segment_ptr 1
		.amdhsa_user_sgpr_dispatch_id 0
		.amdhsa_user_sgpr_private_segment_size 0
		.amdhsa_wavefront_size32 1
		.amdhsa_uses_dynamic_stack 0
		.amdhsa_enable_private_segment 0
		.amdhsa_system_sgpr_workgroup_id_x 1
		.amdhsa_system_sgpr_workgroup_id_y 0
		.amdhsa_system_sgpr_workgroup_id_z 0
		.amdhsa_system_sgpr_workgroup_info 0
		.amdhsa_system_vgpr_workitem_id 0
		.amdhsa_next_free_vgpr 162
		.amdhsa_next_free_sgpr 16
		.amdhsa_reserve_vcc 1
		.amdhsa_float_round_mode_32 0
		.amdhsa_float_round_mode_16_64 0
		.amdhsa_float_denorm_mode_32 3
		.amdhsa_float_denorm_mode_16_64 3
		.amdhsa_fp16_overflow 0
		.amdhsa_workgroup_processor_mode 1
		.amdhsa_memory_ordered 1
		.amdhsa_forward_progress 0
		.amdhsa_round_robin_scheduling 0
		.amdhsa_exception_fp_ieee_invalid_op 0
		.amdhsa_exception_fp_denorm_src 0
		.amdhsa_exception_fp_ieee_div_zero 0
		.amdhsa_exception_fp_ieee_overflow 0
		.amdhsa_exception_fp_ieee_underflow 0
		.amdhsa_exception_fp_ieee_inexact 0
		.amdhsa_exception_int_div_zero 0
	.end_amdhsa_kernel
	.text
.Lfunc_end0:
	.size	bluestein_single_back_len312_dim1_sp_op_CI_CI, .Lfunc_end0-bluestein_single_back_len312_dim1_sp_op_CI_CI
                                        ; -- End function
	.section	.AMDGPU.csdata,"",@progbits
; Kernel info:
; codeLenInByte = 14080
; NumSgprs: 18
; NumVgprs: 162
; ScratchSize: 0
; MemoryBound: 0
; FloatMode: 240
; IeeeMode: 1
; LDSByteSize: 4992 bytes/workgroup (compile time only)
; SGPRBlocks: 2
; VGPRBlocks: 20
; NumSGPRsForWavesPerEU: 18
; NumVGPRsForWavesPerEU: 162
; Occupancy: 9
; WaveLimiterHint : 1
; COMPUTE_PGM_RSRC2:SCRATCH_EN: 0
; COMPUTE_PGM_RSRC2:USER_SGPR: 2
; COMPUTE_PGM_RSRC2:TRAP_HANDLER: 0
; COMPUTE_PGM_RSRC2:TGID_X_EN: 1
; COMPUTE_PGM_RSRC2:TGID_Y_EN: 0
; COMPUTE_PGM_RSRC2:TGID_Z_EN: 0
; COMPUTE_PGM_RSRC2:TIDIG_COMP_CNT: 0
	.text
	.p2alignl 7, 3214868480
	.fill 96, 4, 3214868480
	.type	__hip_cuid_5fc3e954506dc46a,@object ; @__hip_cuid_5fc3e954506dc46a
	.section	.bss,"aw",@nobits
	.globl	__hip_cuid_5fc3e954506dc46a
__hip_cuid_5fc3e954506dc46a:
	.byte	0                               ; 0x0
	.size	__hip_cuid_5fc3e954506dc46a, 1

	.ident	"AMD clang version 19.0.0git (https://github.com/RadeonOpenCompute/llvm-project roc-6.4.0 25133 c7fe45cf4b819c5991fe208aaa96edf142730f1d)"
	.section	".note.GNU-stack","",@progbits
	.addrsig
	.addrsig_sym __hip_cuid_5fc3e954506dc46a
	.amdgpu_metadata
---
amdhsa.kernels:
  - .args:
      - .actual_access:  read_only
        .address_space:  global
        .offset:         0
        .size:           8
        .value_kind:     global_buffer
      - .actual_access:  read_only
        .address_space:  global
        .offset:         8
        .size:           8
        .value_kind:     global_buffer
      - .actual_access:  read_only
        .address_space:  global
        .offset:         16
        .size:           8
        .value_kind:     global_buffer
      - .actual_access:  read_only
        .address_space:  global
        .offset:         24
        .size:           8
        .value_kind:     global_buffer
      - .actual_access:  read_only
        .address_space:  global
        .offset:         32
        .size:           8
        .value_kind:     global_buffer
      - .offset:         40
        .size:           8
        .value_kind:     by_value
      - .address_space:  global
        .offset:         48
        .size:           8
        .value_kind:     global_buffer
      - .address_space:  global
        .offset:         56
        .size:           8
        .value_kind:     global_buffer
      - .address_space:  global
        .offset:         64
        .size:           8
        .value_kind:     global_buffer
      - .address_space:  global
        .offset:         72
        .size:           8
        .value_kind:     global_buffer
      - .offset:         80
        .size:           4
        .value_kind:     by_value
      - .address_space:  global
        .offset:         88
        .size:           8
        .value_kind:     global_buffer
      - .address_space:  global
        .offset:         96
        .size:           8
        .value_kind:     global_buffer
    .group_segment_fixed_size: 4992
    .kernarg_segment_align: 8
    .kernarg_segment_size: 104
    .language:       OpenCL C
    .language_version:
      - 2
      - 0
    .max_flat_workgroup_size: 52
    .name:           bluestein_single_back_len312_dim1_sp_op_CI_CI
    .private_segment_fixed_size: 0
    .sgpr_count:     18
    .sgpr_spill_count: 0
    .symbol:         bluestein_single_back_len312_dim1_sp_op_CI_CI.kd
    .uniform_work_group_size: 1
    .uses_dynamic_stack: false
    .vgpr_count:     162
    .vgpr_spill_count: 0
    .wavefront_size: 32
    .workgroup_processor_mode: 1
amdhsa.target:   amdgcn-amd-amdhsa--gfx1201
amdhsa.version:
  - 1
  - 2
...

	.end_amdgpu_metadata
